;; amdgpu-corpus repo=ROCm/hipCUB kind=compiled arch=gfx906 opt=O3
	.amdgcn_target "amdgcn-amd-amdhsa--gfx906"
	.amdhsa_code_object_version 6
	.section	.text._Z30block_run_length_decode_kernelI12hip_bfloat16iLj256ELj9ELj7EEvPKT_PKT0_PS1_,"axG",@progbits,_Z30block_run_length_decode_kernelI12hip_bfloat16iLj256ELj9ELj7EEvPKT_PKT0_PS1_,comdat
	.protected	_Z30block_run_length_decode_kernelI12hip_bfloat16iLj256ELj9ELj7EEvPKT_PKT0_PS1_ ; -- Begin function _Z30block_run_length_decode_kernelI12hip_bfloat16iLj256ELj9ELj7EEvPKT_PKT0_PS1_
	.globl	_Z30block_run_length_decode_kernelI12hip_bfloat16iLj256ELj9ELj7EEvPKT_PKT0_PS1_
	.p2align	8
	.type	_Z30block_run_length_decode_kernelI12hip_bfloat16iLj256ELj9ELj7EEvPKT_PKT0_PS1_,@function
_Z30block_run_length_decode_kernelI12hip_bfloat16iLj256ELj9ELj7EEvPKT_PKT0_PS1_: ; @_Z30block_run_length_decode_kernelI12hip_bfloat16iLj256ELj9ELj7EEvPKT_PKT0_PS1_
; %bb.0:
	s_load_dwordx4 s[0:3], s[4:5], 0x0
	v_lshl_or_b32 v13, s6, 8, v0
	v_lshl_add_u32 v1, v13, 3, v13
	v_mov_b32_e32 v2, 0
	v_lshlrev_b64 v[3:4], 2, v[1:2]
	s_waitcnt lgkmcnt(0)
	v_mov_b32_e32 v5, s3
	v_add_co_u32_e32 v3, vcc, s2, v3
	v_addc_co_u32_e32 v4, vcc, v5, v4, vcc
	global_load_dwordx4 v[9:12], v[3:4], off
	global_load_dwordx4 v[5:8], v[3:4], off offset:16
	global_load_dword v17, v[3:4], off offset:32
	v_lshlrev_b64 v[1:2], 1, v[1:2]
	v_mov_b32_e32 v3, s1
	v_add_co_u32_e32 v15, vcc, s0, v1
	v_addc_co_u32_e32 v16, vcc, v3, v2, vcc
	global_load_dwordx4 v[1:4], v[15:16], off
	global_load_ushort v14, v[15:16], off offset:16
	v_mbcnt_lo_u32_b32 v15, -1, 0
	v_mbcnt_hi_u32_b32 v15, -1, v15
	v_and_b32_e32 v19, 15, v15
	v_cmp_ne_u32_e32 vcc, 0, v19
	v_bfe_i32 v20, v15, 4, 1
	v_or_b32_e32 v18, 63, v0
	v_lshrrev_b32_e32 v16, 6, v0
	s_waitcnt vmcnt(4)
	v_add3_u32 v21, v10, v9, v11
	s_waitcnt vmcnt(3)
	v_add3_u32 v21, v21, v12, v5
	v_add3_u32 v21, v21, v6, v7
	s_waitcnt vmcnt(2)
	v_add3_u32 v17, v21, v8, v17
	s_nop 1
	v_mov_b32_dpp v21, v17 row_shr:1 row_mask:0xf bank_mask:0xf
	v_cndmask_b32_e32 v21, 0, v21, vcc
	v_add_u32_e32 v17, v21, v17
	v_cmp_lt_u32_e32 vcc, 1, v19
	s_nop 0
	v_mov_b32_dpp v21, v17 row_shr:2 row_mask:0xf bank_mask:0xf
	v_cndmask_b32_e32 v21, 0, v21, vcc
	v_add_u32_e32 v17, v17, v21
	v_cmp_lt_u32_e32 vcc, 3, v19
	;; [unrolled: 5-line block ×4, first 2 shown]
	s_nop 0
	v_mov_b32_dpp v19, v17 row_bcast:15 row_mask:0xf bank_mask:0xf
	v_and_b32_e32 v19, v20, v19
	v_add_u32_e32 v17, v17, v19
	s_nop 1
	v_mov_b32_dpp v19, v17 row_bcast:31 row_mask:0xf bank_mask:0xf
	v_cndmask_b32_e32 v19, 0, v19, vcc
	v_add_u32_e32 v17, v17, v19
	v_cmp_eq_u32_e32 vcc, v0, v18
	s_and_saveexec_b64 s[0:1], vcc
; %bb.1:
	v_lshlrev_b32_e32 v18, 2, v16
	ds_write_b32 v18, v17
; %bb.2:
	s_or_b64 exec, exec, s[0:1]
	v_cmp_gt_u32_e32 vcc, 4, v0
	s_waitcnt vmcnt(0) lgkmcnt(0)
	s_barrier
	s_and_saveexec_b64 s[0:1], vcc
	s_cbranch_execz .LBB0_4
; %bb.3:
	v_lshlrev_b32_e32 v18, 2, v0
	ds_read_b32 v19, v18
	v_and_b32_e32 v20, 3, v15
	v_cmp_ne_u32_e32 vcc, 0, v20
	s_waitcnt lgkmcnt(0)
	v_mov_b32_dpp v21, v19 row_shr:1 row_mask:0xf bank_mask:0xf
	v_cndmask_b32_e32 v21, 0, v21, vcc
	v_add_u32_e32 v19, v21, v19
	v_cmp_lt_u32_e32 vcc, 1, v20
	s_nop 0
	v_mov_b32_dpp v21, v19 row_shr:2 row_mask:0xf bank_mask:0xf
	v_cndmask_b32_e32 v20, 0, v21, vcc
	v_add_u32_e32 v19, v19, v20
	ds_write_b32 v18, v19
.LBB0_4:
	s_or_b64 exec, exec, s[0:1]
	v_cmp_lt_u32_e32 vcc, 63, v0
	v_mov_b32_e32 v18, 0
	v_mov_b32_e32 v19, 0
	s_waitcnt lgkmcnt(0)
	s_barrier
	s_and_saveexec_b64 s[0:1], vcc
; %bb.5:
	v_lshl_add_u32 v16, v16, 2, -4
	ds_read_b32 v19, v16
; %bb.6:
	s_or_b64 exec, exec, s[0:1]
	s_waitcnt lgkmcnt(0)
	v_add_u32_e32 v16, v19, v17
	v_subrev_co_u32_e32 v17, vcc, 1, v15
	v_and_b32_e32 v20, 64, v15
	v_cmp_lt_i32_e64 s[0:1], v17, v20
	v_cndmask_b32_e64 v15, v17, v15, s[0:1]
	v_lshlrev_b32_e32 v15, 2, v15
	ds_bpermute_b32 v15, v15, v16
	v_mul_u32_u24_e32 v17, 9, v0
	v_lshlrev_b32_e32 v17, 1, v17
	ds_read_b32 v16, v18 offset:12
	v_mad_u32_u24 v18, v0, 18, v17
	s_waitcnt lgkmcnt(1)
	v_cndmask_b32_e32 v15, v15, v19, vcc
	v_cmp_ne_u32_e32 vcc, 0, v0
	v_cndmask_b32_e32 v15, 0, v15, vcc
	s_movk_i32 s0, 0xffee
	v_add_u32_e32 v9, v15, v9
	s_waitcnt lgkmcnt(0)
	s_barrier
	ds_write_b32 v18, v15 offset:4608
	ds_write_b32 v17, v1
	ds_write_b32 v18, v9 offset:4612
	v_mad_i32_i24 v1, v0, s0, v18
	v_add_u32_e32 v10, v9, v10
	v_mad_u32_u24 v9, v0, 18, v1
	v_add_u32_e32 v11, v10, v11
	ds_write_b32 v9, v10 offset:4616
	ds_write_b32 v1, v2 offset:4
	ds_write_b32 v9, v11 offset:4620
	v_mad_i32_i24 v1, v0, s0, v9
	v_add_u32_e32 v12, v11, v12
	v_mad_u32_u24 v2, v0, 18, v1
	v_add_u32_e32 v5, v12, v5
	ds_write_b32 v2, v12 offset:4624
	ds_write_b32 v1, v3 offset:8
	;; [unrolled: 7-line block ×3, first 2 shown]
	ds_write_b32 v2, v7 offset:4636
	v_mad_i32_i24 v1, v0, s0, v2
	v_cmp_eq_u32_e32 vcc, 0, v16
	s_mov_b32 s1, 0
	v_add_u32_e32 v8, v7, v8
	v_readfirstlane_b32 s6, v16
	ds_write_b16 v1, v14 offset:16
	v_mad_u32_u24 v1, v0, 18, v1
	ds_write_b32 v1, v8 offset:4640
	s_waitcnt lgkmcnt(0)
	s_barrier
	s_cbranch_vccnz .LBB0_59
; %bb.7:
	v_mul_lo_u32 v1, v13, 7
	s_load_dwordx2 s[2:3], s[4:5], 0x10
	v_mov_b32_e32 v2, 0
	ds_read_b32 v4, v2 offset:9216
	v_lshlrev_b64 v[2:3], 1, v[1:2]
	v_mul_u32_u24_e32 v0, 7, v0
	s_waitcnt lgkmcnt(0)
	v_mov_b32_e32 v6, s3
	v_add_co_u32_e32 v5, vcc, s2, v2
	v_addc_co_u32_e32 v6, vcc, v6, v3, vcc
	v_add_u32_e32 v7, 1, v1
	v_add_u32_e32 v8, 2, v1
	;; [unrolled: 1-line block ×6, first 2 shown]
	v_mov_b32_e32 v13, 0x481
	v_mov_b32_e32 v14, 0x900
	;; [unrolled: 1-line block ×5, first 2 shown]
	s_movk_i32 s7, 0x8ff
	s_mov_b32 s8, s6
	s_mov_b32 s0, s1
	s_branch .LBB0_9
.LBB0_8:                                ;   in Loop: Header=BB0_9 Depth=1
	s_or_b64 exec, exec, s[2:3]
	s_addk_i32 s0, 0x700
	s_addk_i32 s8, 0xf900
	s_cmp_lt_u32 s0, s6
	s_cbranch_scc0 .LBB0_59
.LBB0_9:                                ; =>This Inner Loop Header: Depth=1
	v_add_u32_e32 v2, s0, v0
	v_cmp_lt_u32_e32 vcc, v2, v4
	v_cndmask_b32_e32 v18, v16, v17, vcc
	v_lshlrev_b32_e32 v19, 2, v18
	ds_read_b32 v19, v19 offset:4608
	v_cndmask_b32_e64 v3, v13, 0, vcc
	v_cndmask_b32_e32 v20, v14, v15, vcc
	v_or_b32_e32 v21, 1, v18
	s_waitcnt lgkmcnt(0)
	v_cmp_lt_u32_e32 vcc, v2, v19
	v_cndmask_b32_e32 v3, v21, v3, vcc
	v_cndmask_b32_e32 v18, v20, v18, vcc
	v_sub_u32_e32 v19, v18, v3
	v_lshrrev_b16_e32 v20, 15, v19
	v_add_u16_e32 v19, v19, v20
	v_ashrrev_i16_e32 v19, 1, v19
	v_add_u32_sdwa v19, v3, sext(v19) dst_sel:DWORD dst_unused:UNUSED_PAD src0_sel:DWORD src1_sel:WORD_0
	v_min_i32_e32 v19, 0x8ff, v19
	v_lshlrev_b32_e32 v20, 2, v19
	ds_read_b32 v20, v20 offset:4608
	v_add_u32_e32 v21, 1, v19
	s_waitcnt lgkmcnt(0)
	v_cmp_lt_u32_e32 vcc, v2, v20
	v_cndmask_b32_e32 v3, v21, v3, vcc
	v_cndmask_b32_e32 v18, v18, v19, vcc
	v_sub_u32_e32 v19, v18, v3
	v_lshrrev_b16_e32 v20, 15, v19
	v_add_u16_e32 v19, v19, v20
	v_ashrrev_i16_e32 v19, 1, v19
	v_add_u32_sdwa v19, v3, sext(v19) dst_sel:DWORD dst_unused:UNUSED_PAD src0_sel:DWORD src1_sel:WORD_0
	v_min_i32_e32 v19, 0x8ff, v19
	v_lshlrev_b32_e32 v20, 2, v19
	ds_read_b32 v20, v20 offset:4608
	v_add_u32_e32 v21, 1, v19
	s_waitcnt lgkmcnt(0)
	v_cmp_lt_u32_e32 vcc, v2, v20
	v_cndmask_b32_e32 v3, v21, v3, vcc
	v_cndmask_b32_e32 v18, v18, v19, vcc
	v_sub_u32_e32 v19, v18, v3
	v_lshrrev_b16_e32 v20, 15, v19
	v_add_u16_e32 v19, v19, v20
	v_ashrrev_i16_e32 v19, 1, v19
	v_add_u32_sdwa v19, v3, sext(v19) dst_sel:DWORD dst_unused:UNUSED_PAD src0_sel:DWORD src1_sel:WORD_0
	v_min_i32_e32 v19, 0x8ff, v19
	v_lshlrev_b32_e32 v20, 2, v19
	ds_read_b32 v20, v20 offset:4608
	v_add_u32_e32 v21, 1, v19
	s_waitcnt lgkmcnt(0)
	v_cmp_lt_u32_e32 vcc, v2, v20
	v_cndmask_b32_e32 v3, v21, v3, vcc
	v_cndmask_b32_e32 v18, v18, v19, vcc
	v_sub_u32_e32 v19, v18, v3
	v_lshrrev_b16_e32 v20, 15, v19
	v_add_u16_e32 v19, v19, v20
	v_ashrrev_i16_e32 v19, 1, v19
	v_add_u32_sdwa v19, v3, sext(v19) dst_sel:DWORD dst_unused:UNUSED_PAD src0_sel:DWORD src1_sel:WORD_0
	v_min_i32_e32 v19, 0x8ff, v19
	v_lshlrev_b32_e32 v20, 2, v19
	ds_read_b32 v20, v20 offset:4608
	v_add_u32_e32 v21, 1, v19
	s_waitcnt lgkmcnt(0)
	v_cmp_lt_u32_e32 vcc, v2, v20
	v_cndmask_b32_e32 v3, v21, v3, vcc
	v_cndmask_b32_e32 v18, v18, v19, vcc
	v_sub_u32_e32 v19, v18, v3
	v_lshrrev_b16_e32 v20, 15, v19
	v_add_u16_e32 v19, v19, v20
	v_ashrrev_i16_e32 v19, 1, v19
	v_add_u32_sdwa v19, v3, sext(v19) dst_sel:DWORD dst_unused:UNUSED_PAD src0_sel:DWORD src1_sel:WORD_0
	v_min_i32_e32 v19, 0x8ff, v19
	v_lshlrev_b32_e32 v20, 2, v19
	ds_read_b32 v20, v20 offset:4608
	v_add_u32_e32 v21, 1, v19
	s_waitcnt lgkmcnt(0)
	v_cmp_lt_u32_e32 vcc, v2, v20
	v_cndmask_b32_e32 v3, v21, v3, vcc
	v_cndmask_b32_e32 v18, v18, v19, vcc
	v_sub_u32_e32 v19, v18, v3
	v_lshrrev_b16_e32 v20, 15, v19
	v_add_u16_e32 v19, v19, v20
	v_ashrrev_i16_e32 v19, 1, v19
	v_add_u32_sdwa v19, v3, sext(v19) dst_sel:DWORD dst_unused:UNUSED_PAD src0_sel:DWORD src1_sel:WORD_0
	v_min_i32_e32 v19, 0x8ff, v19
	v_lshlrev_b32_e32 v20, 2, v19
	ds_read_b32 v20, v20 offset:4608
	v_add_u32_e32 v21, 1, v19
	s_waitcnt lgkmcnt(0)
	v_cmp_lt_u32_e32 vcc, v2, v20
	v_cndmask_b32_e32 v3, v21, v3, vcc
	v_cndmask_b32_e32 v18, v18, v19, vcc
	v_sub_u32_e32 v19, v18, v3
	v_lshrrev_b16_e32 v20, 15, v19
	v_add_u16_e32 v19, v19, v20
	v_ashrrev_i16_e32 v19, 1, v19
	v_add_u32_sdwa v19, v3, sext(v19) dst_sel:DWORD dst_unused:UNUSED_PAD src0_sel:DWORD src1_sel:WORD_0
	v_min_i32_e32 v19, 0x8ff, v19
	v_lshlrev_b32_e32 v20, 2, v19
	ds_read_b32 v20, v20 offset:4608
	v_add_u32_e32 v21, 1, v19
	s_waitcnt lgkmcnt(0)
	v_cmp_lt_u32_e32 vcc, v2, v20
	v_cndmask_b32_e32 v3, v21, v3, vcc
	v_cndmask_b32_e32 v18, v18, v19, vcc
	v_sub_u32_e32 v19, v18, v3
	v_lshrrev_b32_e32 v20, 31, v19
	v_add_u32_e32 v19, v19, v20
	v_ashrrev_i32_e32 v19, 1, v19
	v_add_u32_e32 v19, v19, v3
	v_min_i32_e32 v19, 0x8ff, v19
	v_lshlrev_b32_e32 v20, 2, v19
	ds_read_b32 v20, v20 offset:4608
	v_add_u32_e32 v21, 1, v19
	s_waitcnt lgkmcnt(0)
	v_cmp_lt_u32_e32 vcc, v2, v20
	v_cndmask_b32_e32 v3, v21, v3, vcc
	v_cndmask_b32_e32 v18, v18, v19, vcc
	v_sub_u32_e32 v19, v18, v3
	v_lshrrev_b32_e32 v20, 31, v19
	v_add_u32_e32 v19, v19, v20
	v_ashrrev_i32_e32 v19, 1, v19
	v_add_u32_e32 v19, v19, v3
	v_min_i32_e32 v19, 0x8ff, v19
	v_lshlrev_b32_e32 v20, 2, v19
	ds_read_b32 v20, v20 offset:4608
	v_add_u32_e32 v21, 1, v19
	;; [unrolled: 13-line block ×4, first 2 shown]
	s_waitcnt lgkmcnt(0)
	v_cmp_lt_u32_e32 vcc, v2, v19
	v_cndmask_b32_e32 v20, v18, v3, vcc
	v_add_u32_e32 v3, -1, v20
	v_cmp_ne_u32_e32 vcc, s7, v3
                                        ; implicit-def: $vgpr19
	s_and_saveexec_b64 s[2:3], vcc
	s_xor_b64 s[2:3], exec, s[2:3]
; %bb.10:                               ;   in Loop: Header=BB0_9 Depth=1
	v_lshlrev_b32_e32 v18, 2, v20
	ds_read_b32 v19, v18 offset:4608
; %bb.11:                               ;   in Loop: Header=BB0_9 Depth=1
	s_andn2_saveexec_b64 s[2:3], s[2:3]
	s_cbranch_execz .LBB0_13
; %bb.12:                               ;   in Loop: Header=BB0_9 Depth=1
	s_waitcnt lgkmcnt(0)
	v_add_u32_e32 v19, 7, v2
.LBB0_13:                               ;   in Loop: Header=BB0_9 Depth=1
	s_or_b64 exec, exec, s[2:3]
	v_lshlrev_b32_e32 v18, 1, v3
	ds_read_u16 v18, v18
	s_waitcnt lgkmcnt(1)
	v_add_u32_e32 v23, -1, v19
	v_cmp_eq_u32_e32 vcc, v2, v23
	s_waitcnt lgkmcnt(0)
	v_mov_b32_e32 v19, v18
	s_and_saveexec_b64 s[2:3], vcc
	s_cbranch_execz .LBB0_19
; %bb.14:                               ;   in Loop: Header=BB0_9 Depth=1
	v_cmp_ne_u32_e32 vcc, s7, v20
                                        ; implicit-def: $vgpr3
	s_and_saveexec_b64 s[4:5], vcc
	s_xor_b64 s[4:5], exec, s[4:5]
; %bb.15:                               ;   in Loop: Header=BB0_9 Depth=1
	v_lshlrev_b32_e32 v3, 2, v20
	ds_read_b32 v3, v3 offset:4612
; %bb.16:                               ;   in Loop: Header=BB0_9 Depth=1
	s_andn2_saveexec_b64 s[4:5], s[4:5]
	s_cbranch_execz .LBB0_18
; %bb.17:                               ;   in Loop: Header=BB0_9 Depth=1
	s_waitcnt lgkmcnt(0)
	v_add_u32_e32 v3, 7, v2
.LBB0_18:                               ;   in Loop: Header=BB0_9 Depth=1
	s_or_b64 exec, exec, s[4:5]
	v_lshlrev_b32_e32 v19, 1, v20
	ds_read_u16 v19, v19
	s_waitcnt lgkmcnt(1)
	v_add_u32_e32 v23, -1, v3
	v_mov_b32_e32 v3, v20
.LBB0_19:                               ;   in Loop: Header=BB0_9 Depth=1
	s_or_b64 exec, exec, s[2:3]
	v_add_u32_e32 v20, 1, v2
	v_cmp_eq_u32_e32 vcc, v20, v23
	s_waitcnt lgkmcnt(0)
	v_mov_b32_e32 v20, v19
	s_and_saveexec_b64 s[2:3], vcc
	s_cbranch_execz .LBB0_25
; %bb.20:                               ;   in Loop: Header=BB0_9 Depth=1
	v_add_u32_e32 v21, 1, v3
	v_cmp_ne_u32_e32 vcc, s7, v21
                                        ; implicit-def: $vgpr22
	s_and_saveexec_b64 s[4:5], vcc
	s_xor_b64 s[4:5], exec, s[4:5]
; %bb.21:                               ;   in Loop: Header=BB0_9 Depth=1
	v_lshlrev_b32_e32 v20, 2, v3
	ds_read_b32 v22, v20 offset:4616
; %bb.22:                               ;   in Loop: Header=BB0_9 Depth=1
	s_andn2_saveexec_b64 s[4:5], s[4:5]
	s_cbranch_execz .LBB0_24
; %bb.23:                               ;   in Loop: Header=BB0_9 Depth=1
	s_waitcnt lgkmcnt(0)
	v_add_u32_e32 v22, 8, v2
.LBB0_24:                               ;   in Loop: Header=BB0_9 Depth=1
	s_or_b64 exec, exec, s[4:5]
	v_lshlrev_b32_e32 v3, 1, v3
	ds_read_u16 v20, v3 offset:2
	s_waitcnt lgkmcnt(1)
	v_add_u32_e32 v23, -1, v22
	v_mov_b32_e32 v3, v21
.LBB0_25:                               ;   in Loop: Header=BB0_9 Depth=1
	s_or_b64 exec, exec, s[2:3]
	v_add_u32_e32 v21, 2, v2
	v_cmp_eq_u32_e32 vcc, v21, v23
	s_waitcnt lgkmcnt(0)
	v_mov_b32_e32 v21, v20
	s_and_saveexec_b64 s[2:3], vcc
	s_cbranch_execz .LBB0_31
; %bb.26:                               ;   in Loop: Header=BB0_9 Depth=1
	v_add_u32_e32 v22, 1, v3
	v_cmp_ne_u32_e32 vcc, s7, v22
                                        ; implicit-def: $vgpr23
	s_and_saveexec_b64 s[4:5], vcc
	s_xor_b64 s[4:5], exec, s[4:5]
; %bb.27:                               ;   in Loop: Header=BB0_9 Depth=1
	v_lshlrev_b32_e32 v21, 2, v3
	ds_read_b32 v23, v21 offset:4616
; %bb.28:                               ;   in Loop: Header=BB0_9 Depth=1
	s_andn2_saveexec_b64 s[4:5], s[4:5]
	s_cbranch_execz .LBB0_30
; %bb.29:                               ;   in Loop: Header=BB0_9 Depth=1
	s_waitcnt lgkmcnt(0)
	v_add_u32_e32 v23, 9, v2
.LBB0_30:                               ;   in Loop: Header=BB0_9 Depth=1
	s_or_b64 exec, exec, s[4:5]
	v_lshlrev_b32_e32 v3, 1, v3
	ds_read_u16 v21, v3 offset:2
	s_waitcnt lgkmcnt(1)
	v_add_u32_e32 v23, -1, v23
	v_mov_b32_e32 v3, v22
.LBB0_31:                               ;   in Loop: Header=BB0_9 Depth=1
	s_or_b64 exec, exec, s[2:3]
	v_add_u32_e32 v22, 3, v2
	v_cmp_eq_u32_e32 vcc, v22, v23
	s_waitcnt lgkmcnt(0)
	v_mov_b32_e32 v22, v21
	s_and_saveexec_b64 s[2:3], vcc
	s_cbranch_execz .LBB0_37
; %bb.32:                               ;   in Loop: Header=BB0_9 Depth=1
	v_add_u32_e32 v24, 1, v3
	v_cmp_ne_u32_e32 vcc, s7, v24
                                        ; implicit-def: $vgpr23
	s_and_saveexec_b64 s[4:5], vcc
	s_xor_b64 s[4:5], exec, s[4:5]
; %bb.33:                               ;   in Loop: Header=BB0_9 Depth=1
	v_lshlrev_b32_e32 v22, 2, v3
	ds_read_b32 v23, v22 offset:4616
; %bb.34:                               ;   in Loop: Header=BB0_9 Depth=1
	s_andn2_saveexec_b64 s[4:5], s[4:5]
	s_cbranch_execz .LBB0_36
; %bb.35:                               ;   in Loop: Header=BB0_9 Depth=1
	s_waitcnt lgkmcnt(0)
	v_add_u32_e32 v23, 10, v2
.LBB0_36:                               ;   in Loop: Header=BB0_9 Depth=1
	s_or_b64 exec, exec, s[4:5]
	v_lshlrev_b32_e32 v3, 1, v3
	ds_read_u16 v22, v3 offset:2
	s_waitcnt lgkmcnt(1)
	v_add_u32_e32 v23, -1, v23
	v_mov_b32_e32 v3, v24
.LBB0_37:                               ;   in Loop: Header=BB0_9 Depth=1
	;; [unrolled: 30-line block ×3, first 2 shown]
	s_or_b64 exec, exec, s[2:3]
	v_add_u32_e32 v2, 5, v2
	v_cmp_eq_u32_e32 vcc, v2, v23
	s_waitcnt lgkmcnt(0)
	v_mov_b32_e32 v23, v24
	s_and_saveexec_b64 s[2:3], vcc
; %bb.44:                               ;   in Loop: Header=BB0_9 Depth=1
	v_lshlrev_b32_e32 v2, 1, v3
	ds_read_u16 v23, v2 offset:2
; %bb.45:                               ;   in Loop: Header=BB0_9 Depth=1
	s_or_b64 exec, exec, s[2:3]
	s_lshl_b64 s[2:3], s[0:1], 1
	v_mov_b32_e32 v3, s3
	v_add_co_u32_e32 v2, vcc, s2, v5
	s_min_u32 s4, s8, 0x700
	v_addc_co_u32_e32 v3, vcc, v6, v3, vcc
	v_cmp_gt_u32_e32 vcc, s4, v1
	s_and_saveexec_b64 s[2:3], vcc
	s_cbranch_execnz .LBB0_52
; %bb.46:                               ;   in Loop: Header=BB0_9 Depth=1
	s_or_b64 exec, exec, s[2:3]
	v_cmp_gt_u32_e32 vcc, s4, v7
	s_and_saveexec_b64 s[2:3], vcc
	s_cbranch_execnz .LBB0_53
.LBB0_47:                               ;   in Loop: Header=BB0_9 Depth=1
	s_or_b64 exec, exec, s[2:3]
	v_cmp_gt_u32_e32 vcc, s4, v8
	s_and_saveexec_b64 s[2:3], vcc
	s_cbranch_execnz .LBB0_54
.LBB0_48:                               ;   in Loop: Header=BB0_9 Depth=1
	s_or_b64 exec, exec, s[2:3]
	v_cmp_gt_u32_e32 vcc, s4, v9
	s_and_saveexec_b64 s[2:3], vcc
	s_cbranch_execnz .LBB0_55
.LBB0_49:                               ;   in Loop: Header=BB0_9 Depth=1
	s_or_b64 exec, exec, s[2:3]
	v_cmp_gt_u32_e32 vcc, s4, v10
	s_and_saveexec_b64 s[2:3], vcc
	s_cbranch_execnz .LBB0_56
.LBB0_50:                               ;   in Loop: Header=BB0_9 Depth=1
	s_or_b64 exec, exec, s[2:3]
	v_cmp_gt_u32_e32 vcc, s4, v11
	s_and_saveexec_b64 s[2:3], vcc
	s_cbranch_execnz .LBB0_57
.LBB0_51:                               ;   in Loop: Header=BB0_9 Depth=1
	s_or_b64 exec, exec, s[2:3]
	v_cmp_gt_u32_e32 vcc, s4, v12
	s_and_saveexec_b64 s[2:3], vcc
	s_cbranch_execz .LBB0_8
	s_branch .LBB0_58
.LBB0_52:                               ;   in Loop: Header=BB0_9 Depth=1
	global_store_short v[2:3], v18, off
	s_or_b64 exec, exec, s[2:3]
	v_cmp_gt_u32_e32 vcc, s4, v7
	s_and_saveexec_b64 s[2:3], vcc
	s_cbranch_execz .LBB0_47
.LBB0_53:                               ;   in Loop: Header=BB0_9 Depth=1
	global_store_short v[2:3], v19, off offset:2
	s_or_b64 exec, exec, s[2:3]
	v_cmp_gt_u32_e32 vcc, s4, v8
	s_and_saveexec_b64 s[2:3], vcc
	s_cbranch_execz .LBB0_48
.LBB0_54:                               ;   in Loop: Header=BB0_9 Depth=1
	global_store_short v[2:3], v20, off offset:4
	s_or_b64 exec, exec, s[2:3]
	v_cmp_gt_u32_e32 vcc, s4, v9
	s_and_saveexec_b64 s[2:3], vcc
	s_cbranch_execz .LBB0_49
.LBB0_55:                               ;   in Loop: Header=BB0_9 Depth=1
	global_store_short v[2:3], v21, off offset:6
	s_or_b64 exec, exec, s[2:3]
	v_cmp_gt_u32_e32 vcc, s4, v10
	s_and_saveexec_b64 s[2:3], vcc
	s_cbranch_execz .LBB0_50
.LBB0_56:                               ;   in Loop: Header=BB0_9 Depth=1
	global_store_short v[2:3], v22, off offset:8
	s_or_b64 exec, exec, s[2:3]
	v_cmp_gt_u32_e32 vcc, s4, v11
	s_and_saveexec_b64 s[2:3], vcc
	s_cbranch_execz .LBB0_51
.LBB0_57:                               ;   in Loop: Header=BB0_9 Depth=1
	global_store_short v[2:3], v24, off offset:10
	s_or_b64 exec, exec, s[2:3]
	v_cmp_gt_u32_e32 vcc, s4, v12
	s_and_saveexec_b64 s[2:3], vcc
	s_cbranch_execz .LBB0_8
.LBB0_58:                               ;   in Loop: Header=BB0_9 Depth=1
	s_waitcnt lgkmcnt(0)
	global_store_short v[2:3], v23, off offset:12
	s_branch .LBB0_8
.LBB0_59:
	s_endpgm
	.section	.rodata,"a",@progbits
	.p2align	6, 0x0
	.amdhsa_kernel _Z30block_run_length_decode_kernelI12hip_bfloat16iLj256ELj9ELj7EEvPKT_PKT0_PS1_
		.amdhsa_group_segment_fixed_size 13824
		.amdhsa_private_segment_fixed_size 0
		.amdhsa_kernarg_size 24
		.amdhsa_user_sgpr_count 6
		.amdhsa_user_sgpr_private_segment_buffer 1
		.amdhsa_user_sgpr_dispatch_ptr 0
		.amdhsa_user_sgpr_queue_ptr 0
		.amdhsa_user_sgpr_kernarg_segment_ptr 1
		.amdhsa_user_sgpr_dispatch_id 0
		.amdhsa_user_sgpr_flat_scratch_init 0
		.amdhsa_user_sgpr_private_segment_size 0
		.amdhsa_uses_dynamic_stack 0
		.amdhsa_system_sgpr_private_segment_wavefront_offset 0
		.amdhsa_system_sgpr_workgroup_id_x 1
		.amdhsa_system_sgpr_workgroup_id_y 0
		.amdhsa_system_sgpr_workgroup_id_z 0
		.amdhsa_system_sgpr_workgroup_info 0
		.amdhsa_system_vgpr_workitem_id 0
		.amdhsa_next_free_vgpr 49
		.amdhsa_next_free_sgpr 98
		.amdhsa_reserve_vcc 1
		.amdhsa_reserve_flat_scratch 0
		.amdhsa_float_round_mode_32 0
		.amdhsa_float_round_mode_16_64 0
		.amdhsa_float_denorm_mode_32 3
		.amdhsa_float_denorm_mode_16_64 3
		.amdhsa_dx10_clamp 1
		.amdhsa_ieee_mode 1
		.amdhsa_fp16_overflow 0
		.amdhsa_exception_fp_ieee_invalid_op 0
		.amdhsa_exception_fp_denorm_src 0
		.amdhsa_exception_fp_ieee_div_zero 0
		.amdhsa_exception_fp_ieee_overflow 0
		.amdhsa_exception_fp_ieee_underflow 0
		.amdhsa_exception_fp_ieee_inexact 0
		.amdhsa_exception_int_div_zero 0
	.end_amdhsa_kernel
	.section	.text._Z30block_run_length_decode_kernelI12hip_bfloat16iLj256ELj9ELj7EEvPKT_PKT0_PS1_,"axG",@progbits,_Z30block_run_length_decode_kernelI12hip_bfloat16iLj256ELj9ELj7EEvPKT_PKT0_PS1_,comdat
.Lfunc_end0:
	.size	_Z30block_run_length_decode_kernelI12hip_bfloat16iLj256ELj9ELj7EEvPKT_PKT0_PS1_, .Lfunc_end0-_Z30block_run_length_decode_kernelI12hip_bfloat16iLj256ELj9ELj7EEvPKT_PKT0_PS1_
                                        ; -- End function
	.set _Z30block_run_length_decode_kernelI12hip_bfloat16iLj256ELj9ELj7EEvPKT_PKT0_PS1_.num_vgpr, 26
	.set _Z30block_run_length_decode_kernelI12hip_bfloat16iLj256ELj9ELj7EEvPKT_PKT0_PS1_.num_agpr, 0
	.set _Z30block_run_length_decode_kernelI12hip_bfloat16iLj256ELj9ELj7EEvPKT_PKT0_PS1_.numbered_sgpr, 9
	.set _Z30block_run_length_decode_kernelI12hip_bfloat16iLj256ELj9ELj7EEvPKT_PKT0_PS1_.num_named_barrier, 0
	.set _Z30block_run_length_decode_kernelI12hip_bfloat16iLj256ELj9ELj7EEvPKT_PKT0_PS1_.private_seg_size, 0
	.set _Z30block_run_length_decode_kernelI12hip_bfloat16iLj256ELj9ELj7EEvPKT_PKT0_PS1_.uses_vcc, 1
	.set _Z30block_run_length_decode_kernelI12hip_bfloat16iLj256ELj9ELj7EEvPKT_PKT0_PS1_.uses_flat_scratch, 0
	.set _Z30block_run_length_decode_kernelI12hip_bfloat16iLj256ELj9ELj7EEvPKT_PKT0_PS1_.has_dyn_sized_stack, 0
	.set _Z30block_run_length_decode_kernelI12hip_bfloat16iLj256ELj9ELj7EEvPKT_PKT0_PS1_.has_recursion, 0
	.set _Z30block_run_length_decode_kernelI12hip_bfloat16iLj256ELj9ELj7EEvPKT_PKT0_PS1_.has_indirect_call, 0
	.section	.AMDGPU.csdata,"",@progbits
; Kernel info:
; codeLenInByte = 2616
; TotalNumSgprs: 13
; NumVgprs: 26
; ScratchSize: 0
; MemoryBound: 0
; FloatMode: 240
; IeeeMode: 1
; LDSByteSize: 13824 bytes/workgroup (compile time only)
; SGPRBlocks: 12
; VGPRBlocks: 12
; NumSGPRsForWavesPerEU: 102
; NumVGPRsForWavesPerEU: 49
; Occupancy: 4
; WaveLimiterHint : 0
; COMPUTE_PGM_RSRC2:SCRATCH_EN: 0
; COMPUTE_PGM_RSRC2:USER_SGPR: 6
; COMPUTE_PGM_RSRC2:TRAP_HANDLER: 0
; COMPUTE_PGM_RSRC2:TGID_X_EN: 1
; COMPUTE_PGM_RSRC2:TGID_Y_EN: 0
; COMPUTE_PGM_RSRC2:TGID_Z_EN: 0
; COMPUTE_PGM_RSRC2:TIDIG_COMP_CNT: 0
	.section	.text._Z30block_run_length_decode_kernelI6__halfiLj256ELj9ELj7EEvPKT_PKT0_PS1_,"axG",@progbits,_Z30block_run_length_decode_kernelI6__halfiLj256ELj9ELj7EEvPKT_PKT0_PS1_,comdat
	.protected	_Z30block_run_length_decode_kernelI6__halfiLj256ELj9ELj7EEvPKT_PKT0_PS1_ ; -- Begin function _Z30block_run_length_decode_kernelI6__halfiLj256ELj9ELj7EEvPKT_PKT0_PS1_
	.globl	_Z30block_run_length_decode_kernelI6__halfiLj256ELj9ELj7EEvPKT_PKT0_PS1_
	.p2align	8
	.type	_Z30block_run_length_decode_kernelI6__halfiLj256ELj9ELj7EEvPKT_PKT0_PS1_,@function
_Z30block_run_length_decode_kernelI6__halfiLj256ELj9ELj7EEvPKT_PKT0_PS1_: ; @_Z30block_run_length_decode_kernelI6__halfiLj256ELj9ELj7EEvPKT_PKT0_PS1_
; %bb.0:
	s_load_dwordx4 s[0:3], s[4:5], 0x0
	v_lshl_or_b32 v13, s6, 8, v0
	v_lshl_add_u32 v1, v13, 3, v13
	v_mov_b32_e32 v2, 0
	v_lshlrev_b64 v[3:4], 2, v[1:2]
	s_waitcnt lgkmcnt(0)
	v_mov_b32_e32 v5, s3
	v_add_co_u32_e32 v3, vcc, s2, v3
	v_addc_co_u32_e32 v4, vcc, v5, v4, vcc
	global_load_dwordx4 v[9:12], v[3:4], off
	global_load_dwordx4 v[5:8], v[3:4], off offset:16
	global_load_dword v17, v[3:4], off offset:32
	v_lshlrev_b64 v[1:2], 1, v[1:2]
	v_mov_b32_e32 v3, s1
	v_add_co_u32_e32 v15, vcc, s0, v1
	v_addc_co_u32_e32 v16, vcc, v3, v2, vcc
	global_load_dwordx4 v[1:4], v[15:16], off
	global_load_ushort v14, v[15:16], off offset:16
	v_mbcnt_lo_u32_b32 v15, -1, 0
	v_mbcnt_hi_u32_b32 v15, -1, v15
	v_and_b32_e32 v19, 15, v15
	v_cmp_ne_u32_e32 vcc, 0, v19
	v_bfe_i32 v20, v15, 4, 1
	v_or_b32_e32 v18, 63, v0
	v_lshrrev_b32_e32 v16, 6, v0
	s_waitcnt vmcnt(4)
	v_add3_u32 v21, v10, v9, v11
	s_waitcnt vmcnt(3)
	v_add3_u32 v21, v21, v12, v5
	v_add3_u32 v21, v21, v6, v7
	s_waitcnt vmcnt(2)
	v_add3_u32 v17, v21, v8, v17
	s_nop 1
	v_mov_b32_dpp v21, v17 row_shr:1 row_mask:0xf bank_mask:0xf
	v_cndmask_b32_e32 v21, 0, v21, vcc
	v_add_u32_e32 v17, v21, v17
	v_cmp_lt_u32_e32 vcc, 1, v19
	s_nop 0
	v_mov_b32_dpp v21, v17 row_shr:2 row_mask:0xf bank_mask:0xf
	v_cndmask_b32_e32 v21, 0, v21, vcc
	v_add_u32_e32 v17, v17, v21
	v_cmp_lt_u32_e32 vcc, 3, v19
	;; [unrolled: 5-line block ×4, first 2 shown]
	s_nop 0
	v_mov_b32_dpp v19, v17 row_bcast:15 row_mask:0xf bank_mask:0xf
	v_and_b32_e32 v19, v20, v19
	v_add_u32_e32 v17, v17, v19
	s_nop 1
	v_mov_b32_dpp v19, v17 row_bcast:31 row_mask:0xf bank_mask:0xf
	v_cndmask_b32_e32 v19, 0, v19, vcc
	v_add_u32_e32 v17, v17, v19
	v_cmp_eq_u32_e32 vcc, v0, v18
	s_and_saveexec_b64 s[0:1], vcc
; %bb.1:
	v_lshlrev_b32_e32 v18, 2, v16
	ds_write_b32 v18, v17
; %bb.2:
	s_or_b64 exec, exec, s[0:1]
	v_cmp_gt_u32_e32 vcc, 4, v0
	s_waitcnt vmcnt(0) lgkmcnt(0)
	s_barrier
	s_and_saveexec_b64 s[0:1], vcc
	s_cbranch_execz .LBB1_4
; %bb.3:
	v_lshlrev_b32_e32 v18, 2, v0
	ds_read_b32 v19, v18
	v_and_b32_e32 v20, 3, v15
	v_cmp_ne_u32_e32 vcc, 0, v20
	s_waitcnt lgkmcnt(0)
	v_mov_b32_dpp v21, v19 row_shr:1 row_mask:0xf bank_mask:0xf
	v_cndmask_b32_e32 v21, 0, v21, vcc
	v_add_u32_e32 v19, v21, v19
	v_cmp_lt_u32_e32 vcc, 1, v20
	s_nop 0
	v_mov_b32_dpp v21, v19 row_shr:2 row_mask:0xf bank_mask:0xf
	v_cndmask_b32_e32 v20, 0, v21, vcc
	v_add_u32_e32 v19, v19, v20
	ds_write_b32 v18, v19
.LBB1_4:
	s_or_b64 exec, exec, s[0:1]
	v_cmp_lt_u32_e32 vcc, 63, v0
	v_mov_b32_e32 v18, 0
	v_mov_b32_e32 v19, 0
	s_waitcnt lgkmcnt(0)
	s_barrier
	s_and_saveexec_b64 s[0:1], vcc
; %bb.5:
	v_lshl_add_u32 v16, v16, 2, -4
	ds_read_b32 v19, v16
; %bb.6:
	s_or_b64 exec, exec, s[0:1]
	s_waitcnt lgkmcnt(0)
	v_add_u32_e32 v16, v19, v17
	v_subrev_co_u32_e32 v17, vcc, 1, v15
	v_and_b32_e32 v20, 64, v15
	v_cmp_lt_i32_e64 s[0:1], v17, v20
	v_cndmask_b32_e64 v15, v17, v15, s[0:1]
	v_lshlrev_b32_e32 v15, 2, v15
	ds_bpermute_b32 v15, v15, v16
	v_mul_u32_u24_e32 v17, 9, v0
	v_lshlrev_b32_e32 v17, 1, v17
	ds_read_b32 v16, v18 offset:12
	v_mad_u32_u24 v18, v0, 18, v17
	s_waitcnt lgkmcnt(1)
	v_cndmask_b32_e32 v15, v15, v19, vcc
	v_cmp_ne_u32_e32 vcc, 0, v0
	v_cndmask_b32_e32 v15, 0, v15, vcc
	s_movk_i32 s0, 0xffee
	v_add_u32_e32 v9, v15, v9
	s_waitcnt lgkmcnt(0)
	s_barrier
	ds_write_b32 v18, v15 offset:4608
	ds_write_b32 v17, v1
	ds_write_b32 v18, v9 offset:4612
	v_mad_i32_i24 v1, v0, s0, v18
	v_add_u32_e32 v10, v9, v10
	v_mad_u32_u24 v9, v0, 18, v1
	v_add_u32_e32 v11, v10, v11
	ds_write_b32 v9, v10 offset:4616
	ds_write_b32 v1, v2 offset:4
	ds_write_b32 v9, v11 offset:4620
	v_mad_i32_i24 v1, v0, s0, v9
	v_add_u32_e32 v12, v11, v12
	v_mad_u32_u24 v2, v0, 18, v1
	v_add_u32_e32 v5, v12, v5
	ds_write_b32 v2, v12 offset:4624
	ds_write_b32 v1, v3 offset:8
	;; [unrolled: 7-line block ×3, first 2 shown]
	ds_write_b32 v2, v7 offset:4636
	v_mad_i32_i24 v1, v0, s0, v2
	v_cmp_eq_u32_e32 vcc, 0, v16
	s_mov_b32 s1, 0
	v_add_u32_e32 v8, v7, v8
	v_readfirstlane_b32 s6, v16
	ds_write_b16 v1, v14 offset:16
	v_mad_u32_u24 v1, v0, 18, v1
	ds_write_b32 v1, v8 offset:4640
	s_waitcnt lgkmcnt(0)
	s_barrier
	s_cbranch_vccnz .LBB1_59
; %bb.7:
	v_mul_lo_u32 v1, v13, 7
	s_load_dwordx2 s[2:3], s[4:5], 0x10
	v_mov_b32_e32 v2, 0
	ds_read_b32 v12, v2 offset:9216
	v_lshlrev_b64 v[4:5], 1, v[1:2]
	v_mul_u32_u24_e32 v0, 7, v0
	s_waitcnt lgkmcnt(0)
	v_mov_b32_e32 v3, s3
	v_add_co_u32_e32 v4, vcc, s2, v4
	v_addc_co_u32_e32 v5, vcc, v3, v5, vcc
	v_add_u32_e32 v6, 1, v1
	v_add_u32_e32 v7, 2, v1
	;; [unrolled: 1-line block ×6, first 2 shown]
	v_mov_b32_e32 v13, 0x481
	v_mov_b32_e32 v14, 0x900
	;; [unrolled: 1-line block ×5, first 2 shown]
	s_movk_i32 s7, 0x8ff
	s_mov_b32 s8, s6
	s_mov_b32 s0, s1
	s_branch .LBB1_9
.LBB1_8:                                ;   in Loop: Header=BB1_9 Depth=1
	s_or_b64 exec, exec, s[2:3]
	s_addk_i32 s0, 0x700
	s_addk_i32 s8, 0xf900
	s_cmp_lt_u32 s0, s6
	s_cbranch_scc0 .LBB1_59
.LBB1_9:                                ; =>This Inner Loop Header: Depth=1
	v_add_u32_e32 v2, s0, v0
	v_cmp_lt_u32_e32 vcc, v2, v12
	v_cndmask_b32_e32 v18, v16, v17, vcc
	v_lshlrev_b32_e32 v19, 2, v18
	ds_read_b32 v19, v19 offset:4608
	v_cndmask_b32_e64 v3, v13, 0, vcc
	v_cndmask_b32_e32 v20, v14, v15, vcc
	v_or_b32_e32 v21, 1, v18
	s_waitcnt lgkmcnt(0)
	v_cmp_lt_u32_e32 vcc, v2, v19
	v_cndmask_b32_e32 v3, v21, v3, vcc
	v_cndmask_b32_e32 v18, v20, v18, vcc
	v_sub_u32_e32 v19, v18, v3
	v_lshrrev_b16_e32 v20, 15, v19
	v_add_u16_e32 v19, v19, v20
	v_ashrrev_i16_e32 v19, 1, v19
	v_add_u32_sdwa v19, v3, sext(v19) dst_sel:DWORD dst_unused:UNUSED_PAD src0_sel:DWORD src1_sel:WORD_0
	v_min_i32_e32 v19, 0x8ff, v19
	v_lshlrev_b32_e32 v20, 2, v19
	ds_read_b32 v20, v20 offset:4608
	v_add_u32_e32 v21, 1, v19
	s_waitcnt lgkmcnt(0)
	v_cmp_lt_u32_e32 vcc, v2, v20
	v_cndmask_b32_e32 v3, v21, v3, vcc
	v_cndmask_b32_e32 v18, v18, v19, vcc
	v_sub_u32_e32 v19, v18, v3
	v_lshrrev_b16_e32 v20, 15, v19
	v_add_u16_e32 v19, v19, v20
	v_ashrrev_i16_e32 v19, 1, v19
	v_add_u32_sdwa v19, v3, sext(v19) dst_sel:DWORD dst_unused:UNUSED_PAD src0_sel:DWORD src1_sel:WORD_0
	v_min_i32_e32 v19, 0x8ff, v19
	v_lshlrev_b32_e32 v20, 2, v19
	ds_read_b32 v20, v20 offset:4608
	v_add_u32_e32 v21, 1, v19
	;; [unrolled: 13-line block ×7, first 2 shown]
	s_waitcnt lgkmcnt(0)
	v_cmp_lt_u32_e32 vcc, v2, v20
	v_cndmask_b32_e32 v3, v21, v3, vcc
	v_cndmask_b32_e32 v18, v18, v19, vcc
	v_sub_u32_e32 v19, v18, v3
	v_lshrrev_b32_e32 v20, 31, v19
	v_add_u32_e32 v19, v19, v20
	v_ashrrev_i32_e32 v19, 1, v19
	v_add_u32_e32 v19, v19, v3
	v_min_i32_e32 v19, 0x8ff, v19
	v_lshlrev_b32_e32 v20, 2, v19
	ds_read_b32 v20, v20 offset:4608
	v_add_u32_e32 v21, 1, v19
	s_waitcnt lgkmcnt(0)
	v_cmp_lt_u32_e32 vcc, v2, v20
	v_cndmask_b32_e32 v3, v21, v3, vcc
	v_cndmask_b32_e32 v18, v18, v19, vcc
	v_sub_u32_e32 v19, v18, v3
	v_lshrrev_b32_e32 v20, 31, v19
	v_add_u32_e32 v19, v19, v20
	v_ashrrev_i32_e32 v19, 1, v19
	v_add_u32_e32 v19, v19, v3
	v_min_i32_e32 v19, 0x8ff, v19
	v_lshlrev_b32_e32 v20, 2, v19
	ds_read_b32 v20, v20 offset:4608
	v_add_u32_e32 v21, 1, v19
	;; [unrolled: 13-line block ×4, first 2 shown]
	s_waitcnt lgkmcnt(0)
	v_cmp_lt_u32_e32 vcc, v2, v19
	v_cndmask_b32_e32 v20, v18, v3, vcc
	v_add_u32_e32 v3, -1, v20
	v_cmp_ne_u32_e32 vcc, s7, v3
                                        ; implicit-def: $vgpr19
	s_and_saveexec_b64 s[2:3], vcc
	s_xor_b64 s[2:3], exec, s[2:3]
; %bb.10:                               ;   in Loop: Header=BB1_9 Depth=1
	v_lshlrev_b32_e32 v18, 2, v20
	ds_read_b32 v19, v18 offset:4608
; %bb.11:                               ;   in Loop: Header=BB1_9 Depth=1
	s_andn2_saveexec_b64 s[2:3], s[2:3]
	s_cbranch_execz .LBB1_13
; %bb.12:                               ;   in Loop: Header=BB1_9 Depth=1
	s_waitcnt lgkmcnt(0)
	v_add_u32_e32 v19, 7, v2
.LBB1_13:                               ;   in Loop: Header=BB1_9 Depth=1
	s_or_b64 exec, exec, s[2:3]
	v_lshlrev_b32_e32 v18, 1, v3
	ds_read_u16 v18, v18
	s_waitcnt lgkmcnt(1)
	v_add_u32_e32 v23, -1, v19
	v_cmp_eq_u32_e32 vcc, v2, v23
	s_waitcnt lgkmcnt(0)
	v_mov_b32_e32 v19, v18
	s_and_saveexec_b64 s[2:3], vcc
	s_cbranch_execz .LBB1_19
; %bb.14:                               ;   in Loop: Header=BB1_9 Depth=1
	v_cmp_ne_u32_e32 vcc, s7, v20
                                        ; implicit-def: $vgpr3
	s_and_saveexec_b64 s[4:5], vcc
	s_xor_b64 s[4:5], exec, s[4:5]
; %bb.15:                               ;   in Loop: Header=BB1_9 Depth=1
	v_lshlrev_b32_e32 v3, 2, v20
	ds_read_b32 v3, v3 offset:4612
; %bb.16:                               ;   in Loop: Header=BB1_9 Depth=1
	s_andn2_saveexec_b64 s[4:5], s[4:5]
	s_cbranch_execz .LBB1_18
; %bb.17:                               ;   in Loop: Header=BB1_9 Depth=1
	s_waitcnt lgkmcnt(0)
	v_add_u32_e32 v3, 7, v2
.LBB1_18:                               ;   in Loop: Header=BB1_9 Depth=1
	s_or_b64 exec, exec, s[4:5]
	v_lshlrev_b32_e32 v19, 1, v20
	ds_read_u16 v19, v19
	s_waitcnt lgkmcnt(1)
	v_add_u32_e32 v23, -1, v3
	v_mov_b32_e32 v3, v20
.LBB1_19:                               ;   in Loop: Header=BB1_9 Depth=1
	s_or_b64 exec, exec, s[2:3]
	v_add_u32_e32 v20, 1, v2
	v_cmp_eq_u32_e32 vcc, v20, v23
	s_waitcnt lgkmcnt(0)
	v_mov_b32_e32 v20, v19
	s_and_saveexec_b64 s[2:3], vcc
	s_cbranch_execz .LBB1_25
; %bb.20:                               ;   in Loop: Header=BB1_9 Depth=1
	v_add_u32_e32 v21, 1, v3
	v_cmp_ne_u32_e32 vcc, s7, v21
                                        ; implicit-def: $vgpr22
	s_and_saveexec_b64 s[4:5], vcc
	s_xor_b64 s[4:5], exec, s[4:5]
; %bb.21:                               ;   in Loop: Header=BB1_9 Depth=1
	v_lshlrev_b32_e32 v20, 2, v3
	ds_read_b32 v22, v20 offset:4616
; %bb.22:                               ;   in Loop: Header=BB1_9 Depth=1
	s_andn2_saveexec_b64 s[4:5], s[4:5]
	s_cbranch_execz .LBB1_24
; %bb.23:                               ;   in Loop: Header=BB1_9 Depth=1
	s_waitcnt lgkmcnt(0)
	v_add_u32_e32 v22, 8, v2
.LBB1_24:                               ;   in Loop: Header=BB1_9 Depth=1
	s_or_b64 exec, exec, s[4:5]
	v_lshlrev_b32_e32 v3, 1, v3
	ds_read_u16 v20, v3 offset:2
	s_waitcnt lgkmcnt(1)
	v_add_u32_e32 v23, -1, v22
	v_mov_b32_e32 v3, v21
.LBB1_25:                               ;   in Loop: Header=BB1_9 Depth=1
	s_or_b64 exec, exec, s[2:3]
	v_add_u32_e32 v21, 2, v2
	v_cmp_eq_u32_e32 vcc, v21, v23
	s_waitcnt lgkmcnt(0)
	v_mov_b32_e32 v21, v20
	s_and_saveexec_b64 s[2:3], vcc
	s_cbranch_execz .LBB1_31
; %bb.26:                               ;   in Loop: Header=BB1_9 Depth=1
	v_add_u32_e32 v22, 1, v3
	v_cmp_ne_u32_e32 vcc, s7, v22
                                        ; implicit-def: $vgpr23
	s_and_saveexec_b64 s[4:5], vcc
	s_xor_b64 s[4:5], exec, s[4:5]
; %bb.27:                               ;   in Loop: Header=BB1_9 Depth=1
	v_lshlrev_b32_e32 v21, 2, v3
	ds_read_b32 v23, v21 offset:4616
; %bb.28:                               ;   in Loop: Header=BB1_9 Depth=1
	s_andn2_saveexec_b64 s[4:5], s[4:5]
	s_cbranch_execz .LBB1_30
; %bb.29:                               ;   in Loop: Header=BB1_9 Depth=1
	s_waitcnt lgkmcnt(0)
	v_add_u32_e32 v23, 9, v2
.LBB1_30:                               ;   in Loop: Header=BB1_9 Depth=1
	s_or_b64 exec, exec, s[4:5]
	v_lshlrev_b32_e32 v3, 1, v3
	ds_read_u16 v21, v3 offset:2
	s_waitcnt lgkmcnt(1)
	v_add_u32_e32 v23, -1, v23
	v_mov_b32_e32 v3, v22
.LBB1_31:                               ;   in Loop: Header=BB1_9 Depth=1
	s_or_b64 exec, exec, s[2:3]
	v_add_u32_e32 v22, 3, v2
	v_cmp_eq_u32_e32 vcc, v22, v23
	s_waitcnt lgkmcnt(0)
	v_mov_b32_e32 v22, v21
	s_and_saveexec_b64 s[2:3], vcc
	s_cbranch_execz .LBB1_37
; %bb.32:                               ;   in Loop: Header=BB1_9 Depth=1
	v_add_u32_e32 v24, 1, v3
	v_cmp_ne_u32_e32 vcc, s7, v24
                                        ; implicit-def: $vgpr23
	s_and_saveexec_b64 s[4:5], vcc
	s_xor_b64 s[4:5], exec, s[4:5]
; %bb.33:                               ;   in Loop: Header=BB1_9 Depth=1
	v_lshlrev_b32_e32 v22, 2, v3
	ds_read_b32 v23, v22 offset:4616
; %bb.34:                               ;   in Loop: Header=BB1_9 Depth=1
	s_andn2_saveexec_b64 s[4:5], s[4:5]
	s_cbranch_execz .LBB1_36
; %bb.35:                               ;   in Loop: Header=BB1_9 Depth=1
	s_waitcnt lgkmcnt(0)
	v_add_u32_e32 v23, 10, v2
.LBB1_36:                               ;   in Loop: Header=BB1_9 Depth=1
	s_or_b64 exec, exec, s[4:5]
	v_lshlrev_b32_e32 v3, 1, v3
	ds_read_u16 v22, v3 offset:2
	s_waitcnt lgkmcnt(1)
	v_add_u32_e32 v23, -1, v23
	v_mov_b32_e32 v3, v24
.LBB1_37:                               ;   in Loop: Header=BB1_9 Depth=1
	;; [unrolled: 30-line block ×3, first 2 shown]
	s_or_b64 exec, exec, s[2:3]
	v_add_u32_e32 v2, 5, v2
	v_cmp_eq_u32_e32 vcc, v2, v23
	s_waitcnt lgkmcnt(0)
	v_mov_b32_e32 v23, v24
	s_and_saveexec_b64 s[2:3], vcc
; %bb.44:                               ;   in Loop: Header=BB1_9 Depth=1
	v_lshlrev_b32_e32 v2, 1, v3
	ds_read_u16 v23, v2 offset:2
; %bb.45:                               ;   in Loop: Header=BB1_9 Depth=1
	s_or_b64 exec, exec, s[2:3]
	s_lshl_b64 s[2:3], s[0:1], 1
	v_mov_b32_e32 v3, s3
	v_add_co_u32_e32 v2, vcc, s2, v4
	s_min_u32 s4, s8, 0x700
	v_addc_co_u32_e32 v3, vcc, v5, v3, vcc
	v_cmp_gt_u32_e32 vcc, s4, v1
	s_and_saveexec_b64 s[2:3], vcc
	s_cbranch_execnz .LBB1_52
; %bb.46:                               ;   in Loop: Header=BB1_9 Depth=1
	s_or_b64 exec, exec, s[2:3]
	v_cmp_gt_u32_e32 vcc, s4, v6
	s_and_saveexec_b64 s[2:3], vcc
	s_cbranch_execnz .LBB1_53
.LBB1_47:                               ;   in Loop: Header=BB1_9 Depth=1
	s_or_b64 exec, exec, s[2:3]
	v_cmp_gt_u32_e32 vcc, s4, v7
	s_and_saveexec_b64 s[2:3], vcc
	s_cbranch_execnz .LBB1_54
.LBB1_48:                               ;   in Loop: Header=BB1_9 Depth=1
	s_or_b64 exec, exec, s[2:3]
	v_cmp_gt_u32_e32 vcc, s4, v8
	s_and_saveexec_b64 s[2:3], vcc
	s_cbranch_execnz .LBB1_55
.LBB1_49:                               ;   in Loop: Header=BB1_9 Depth=1
	s_or_b64 exec, exec, s[2:3]
	v_cmp_gt_u32_e32 vcc, s4, v9
	s_and_saveexec_b64 s[2:3], vcc
	s_cbranch_execnz .LBB1_56
.LBB1_50:                               ;   in Loop: Header=BB1_9 Depth=1
	s_or_b64 exec, exec, s[2:3]
	v_cmp_gt_u32_e32 vcc, s4, v10
	s_and_saveexec_b64 s[2:3], vcc
	s_cbranch_execnz .LBB1_57
.LBB1_51:                               ;   in Loop: Header=BB1_9 Depth=1
	s_or_b64 exec, exec, s[2:3]
	v_cmp_gt_u32_e32 vcc, s4, v11
	s_and_saveexec_b64 s[2:3], vcc
	s_cbranch_execz .LBB1_8
	s_branch .LBB1_58
.LBB1_52:                               ;   in Loop: Header=BB1_9 Depth=1
	global_store_short v[2:3], v18, off
	s_or_b64 exec, exec, s[2:3]
	v_cmp_gt_u32_e32 vcc, s4, v6
	s_and_saveexec_b64 s[2:3], vcc
	s_cbranch_execz .LBB1_47
.LBB1_53:                               ;   in Loop: Header=BB1_9 Depth=1
	global_store_short v[2:3], v19, off offset:2
	s_or_b64 exec, exec, s[2:3]
	v_cmp_gt_u32_e32 vcc, s4, v7
	s_and_saveexec_b64 s[2:3], vcc
	s_cbranch_execz .LBB1_48
.LBB1_54:                               ;   in Loop: Header=BB1_9 Depth=1
	global_store_short v[2:3], v20, off offset:4
	s_or_b64 exec, exec, s[2:3]
	v_cmp_gt_u32_e32 vcc, s4, v8
	s_and_saveexec_b64 s[2:3], vcc
	s_cbranch_execz .LBB1_49
.LBB1_55:                               ;   in Loop: Header=BB1_9 Depth=1
	global_store_short v[2:3], v21, off offset:6
	s_or_b64 exec, exec, s[2:3]
	v_cmp_gt_u32_e32 vcc, s4, v9
	s_and_saveexec_b64 s[2:3], vcc
	s_cbranch_execz .LBB1_50
.LBB1_56:                               ;   in Loop: Header=BB1_9 Depth=1
	global_store_short v[2:3], v22, off offset:8
	s_or_b64 exec, exec, s[2:3]
	v_cmp_gt_u32_e32 vcc, s4, v10
	s_and_saveexec_b64 s[2:3], vcc
	s_cbranch_execz .LBB1_51
.LBB1_57:                               ;   in Loop: Header=BB1_9 Depth=1
	global_store_short v[2:3], v24, off offset:10
	s_or_b64 exec, exec, s[2:3]
	v_cmp_gt_u32_e32 vcc, s4, v11
	s_and_saveexec_b64 s[2:3], vcc
	s_cbranch_execz .LBB1_8
.LBB1_58:                               ;   in Loop: Header=BB1_9 Depth=1
	s_waitcnt lgkmcnt(0)
	global_store_short v[2:3], v23, off offset:12
	s_branch .LBB1_8
.LBB1_59:
	s_endpgm
	.section	.rodata,"a",@progbits
	.p2align	6, 0x0
	.amdhsa_kernel _Z30block_run_length_decode_kernelI6__halfiLj256ELj9ELj7EEvPKT_PKT0_PS1_
		.amdhsa_group_segment_fixed_size 13824
		.amdhsa_private_segment_fixed_size 0
		.amdhsa_kernarg_size 24
		.amdhsa_user_sgpr_count 6
		.amdhsa_user_sgpr_private_segment_buffer 1
		.amdhsa_user_sgpr_dispatch_ptr 0
		.amdhsa_user_sgpr_queue_ptr 0
		.amdhsa_user_sgpr_kernarg_segment_ptr 1
		.amdhsa_user_sgpr_dispatch_id 0
		.amdhsa_user_sgpr_flat_scratch_init 0
		.amdhsa_user_sgpr_private_segment_size 0
		.amdhsa_uses_dynamic_stack 0
		.amdhsa_system_sgpr_private_segment_wavefront_offset 0
		.amdhsa_system_sgpr_workgroup_id_x 1
		.amdhsa_system_sgpr_workgroup_id_y 0
		.amdhsa_system_sgpr_workgroup_id_z 0
		.amdhsa_system_sgpr_workgroup_info 0
		.amdhsa_system_vgpr_workitem_id 0
		.amdhsa_next_free_vgpr 49
		.amdhsa_next_free_sgpr 98
		.amdhsa_reserve_vcc 1
		.amdhsa_reserve_flat_scratch 0
		.amdhsa_float_round_mode_32 0
		.amdhsa_float_round_mode_16_64 0
		.amdhsa_float_denorm_mode_32 3
		.amdhsa_float_denorm_mode_16_64 3
		.amdhsa_dx10_clamp 1
		.amdhsa_ieee_mode 1
		.amdhsa_fp16_overflow 0
		.amdhsa_exception_fp_ieee_invalid_op 0
		.amdhsa_exception_fp_denorm_src 0
		.amdhsa_exception_fp_ieee_div_zero 0
		.amdhsa_exception_fp_ieee_overflow 0
		.amdhsa_exception_fp_ieee_underflow 0
		.amdhsa_exception_fp_ieee_inexact 0
		.amdhsa_exception_int_div_zero 0
	.end_amdhsa_kernel
	.section	.text._Z30block_run_length_decode_kernelI6__halfiLj256ELj9ELj7EEvPKT_PKT0_PS1_,"axG",@progbits,_Z30block_run_length_decode_kernelI6__halfiLj256ELj9ELj7EEvPKT_PKT0_PS1_,comdat
.Lfunc_end1:
	.size	_Z30block_run_length_decode_kernelI6__halfiLj256ELj9ELj7EEvPKT_PKT0_PS1_, .Lfunc_end1-_Z30block_run_length_decode_kernelI6__halfiLj256ELj9ELj7EEvPKT_PKT0_PS1_
                                        ; -- End function
	.set _Z30block_run_length_decode_kernelI6__halfiLj256ELj9ELj7EEvPKT_PKT0_PS1_.num_vgpr, 26
	.set _Z30block_run_length_decode_kernelI6__halfiLj256ELj9ELj7EEvPKT_PKT0_PS1_.num_agpr, 0
	.set _Z30block_run_length_decode_kernelI6__halfiLj256ELj9ELj7EEvPKT_PKT0_PS1_.numbered_sgpr, 9
	.set _Z30block_run_length_decode_kernelI6__halfiLj256ELj9ELj7EEvPKT_PKT0_PS1_.num_named_barrier, 0
	.set _Z30block_run_length_decode_kernelI6__halfiLj256ELj9ELj7EEvPKT_PKT0_PS1_.private_seg_size, 0
	.set _Z30block_run_length_decode_kernelI6__halfiLj256ELj9ELj7EEvPKT_PKT0_PS1_.uses_vcc, 1
	.set _Z30block_run_length_decode_kernelI6__halfiLj256ELj9ELj7EEvPKT_PKT0_PS1_.uses_flat_scratch, 0
	.set _Z30block_run_length_decode_kernelI6__halfiLj256ELj9ELj7EEvPKT_PKT0_PS1_.has_dyn_sized_stack, 0
	.set _Z30block_run_length_decode_kernelI6__halfiLj256ELj9ELj7EEvPKT_PKT0_PS1_.has_recursion, 0
	.set _Z30block_run_length_decode_kernelI6__halfiLj256ELj9ELj7EEvPKT_PKT0_PS1_.has_indirect_call, 0
	.section	.AMDGPU.csdata,"",@progbits
; Kernel info:
; codeLenInByte = 2616
; TotalNumSgprs: 13
; NumVgprs: 26
; ScratchSize: 0
; MemoryBound: 0
; FloatMode: 240
; IeeeMode: 1
; LDSByteSize: 13824 bytes/workgroup (compile time only)
; SGPRBlocks: 12
; VGPRBlocks: 12
; NumSGPRsForWavesPerEU: 102
; NumVGPRsForWavesPerEU: 49
; Occupancy: 4
; WaveLimiterHint : 0
; COMPUTE_PGM_RSRC2:SCRATCH_EN: 0
; COMPUTE_PGM_RSRC2:USER_SGPR: 6
; COMPUTE_PGM_RSRC2:TRAP_HANDLER: 0
; COMPUTE_PGM_RSRC2:TGID_X_EN: 1
; COMPUTE_PGM_RSRC2:TGID_Y_EN: 0
; COMPUTE_PGM_RSRC2:TGID_Z_EN: 0
; COMPUTE_PGM_RSRC2:TIDIG_COMP_CNT: 0
	.section	.text._Z30block_run_length_decode_kernelIfiLj256ELj9ELj7EEvPKT_PKT0_PS0_,"axG",@progbits,_Z30block_run_length_decode_kernelIfiLj256ELj9ELj7EEvPKT_PKT0_PS0_,comdat
	.protected	_Z30block_run_length_decode_kernelIfiLj256ELj9ELj7EEvPKT_PKT0_PS0_ ; -- Begin function _Z30block_run_length_decode_kernelIfiLj256ELj9ELj7EEvPKT_PKT0_PS0_
	.globl	_Z30block_run_length_decode_kernelIfiLj256ELj9ELj7EEvPKT_PKT0_PS0_
	.p2align	8
	.type	_Z30block_run_length_decode_kernelIfiLj256ELj9ELj7EEvPKT_PKT0_PS0_,@function
_Z30block_run_length_decode_kernelIfiLj256ELj9ELj7EEvPKT_PKT0_PS0_: ; @_Z30block_run_length_decode_kernelIfiLj256ELj9ELj7EEvPKT_PKT0_PS0_
; %bb.0:
	s_load_dwordx4 s[0:3], s[4:5], 0x0
	v_lshl_or_b32 v17, s6, 8, v0
	v_lshl_add_u32 v1, v17, 3, v17
	v_mov_b32_e32 v2, 0
	v_lshlrev_b64 v[1:2], 2, v[1:2]
	s_waitcnt lgkmcnt(0)
	v_mov_b32_e32 v4, s3
	v_add_co_u32_e32 v3, vcc, s2, v1
	v_addc_co_u32_e32 v4, vcc, v4, v2, vcc
	global_load_dwordx4 v[13:16], v[3:4], off
	global_load_dwordx4 v[9:12], v[3:4], off offset:16
	global_load_dword v21, v[3:4], off offset:32
	v_mov_b32_e32 v3, s1
	v_add_co_u32_e32 v19, vcc, s0, v1
	v_addc_co_u32_e32 v20, vcc, v3, v2, vcc
	global_load_dword v18, v[19:20], off offset:32
	global_load_dwordx4 v[1:4], v[19:20], off offset:16
	global_load_dwordx4 v[5:8], v[19:20], off
	v_mbcnt_lo_u32_b32 v19, -1, 0
	v_mbcnt_hi_u32_b32 v19, -1, v19
	v_and_b32_e32 v23, 15, v19
	v_cmp_ne_u32_e32 vcc, 0, v23
	v_bfe_i32 v24, v19, 4, 1
	v_or_b32_e32 v22, 63, v0
	v_lshrrev_b32_e32 v20, 6, v0
	s_waitcnt vmcnt(5)
	v_add3_u32 v25, v14, v13, v15
	s_waitcnt vmcnt(4)
	v_add3_u32 v25, v25, v16, v9
	v_add3_u32 v25, v25, v10, v11
	s_waitcnt vmcnt(3)
	v_add3_u32 v21, v25, v12, v21
	s_nop 1
	v_mov_b32_dpp v25, v21 row_shr:1 row_mask:0xf bank_mask:0xf
	v_cndmask_b32_e32 v25, 0, v25, vcc
	v_add_u32_e32 v21, v25, v21
	v_cmp_lt_u32_e32 vcc, 1, v23
	s_nop 0
	v_mov_b32_dpp v25, v21 row_shr:2 row_mask:0xf bank_mask:0xf
	v_cndmask_b32_e32 v25, 0, v25, vcc
	v_add_u32_e32 v21, v21, v25
	v_cmp_lt_u32_e32 vcc, 3, v23
	s_nop 0
	v_mov_b32_dpp v25, v21 row_shr:4 row_mask:0xf bank_mask:0xf
	v_cndmask_b32_e32 v25, 0, v25, vcc
	v_add_u32_e32 v21, v21, v25
	v_cmp_lt_u32_e32 vcc, 7, v23
	s_nop 0
	v_mov_b32_dpp v25, v21 row_shr:8 row_mask:0xf bank_mask:0xf
	v_cndmask_b32_e32 v23, 0, v25, vcc
	v_add_u32_e32 v21, v21, v23
	v_cmp_lt_u32_e32 vcc, 31, v19
	s_nop 0
	v_mov_b32_dpp v23, v21 row_bcast:15 row_mask:0xf bank_mask:0xf
	v_and_b32_e32 v23, v24, v23
	v_add_u32_e32 v21, v21, v23
	s_nop 1
	v_mov_b32_dpp v23, v21 row_bcast:31 row_mask:0xf bank_mask:0xf
	v_cndmask_b32_e32 v23, 0, v23, vcc
	v_add_u32_e32 v21, v21, v23
	v_cmp_eq_u32_e32 vcc, v0, v22
	s_and_saveexec_b64 s[0:1], vcc
; %bb.1:
	v_lshlrev_b32_e32 v22, 2, v20
	ds_write_b32 v22, v21
; %bb.2:
	s_or_b64 exec, exec, s[0:1]
	v_cmp_gt_u32_e32 vcc, 4, v0
	s_waitcnt vmcnt(0) lgkmcnt(0)
	s_barrier
	s_and_saveexec_b64 s[0:1], vcc
	s_cbranch_execz .LBB2_4
; %bb.3:
	v_lshlrev_b32_e32 v22, 2, v0
	ds_read_b32 v23, v22
	v_and_b32_e32 v24, 3, v19
	v_cmp_ne_u32_e32 vcc, 0, v24
	s_waitcnt lgkmcnt(0)
	v_mov_b32_dpp v25, v23 row_shr:1 row_mask:0xf bank_mask:0xf
	v_cndmask_b32_e32 v25, 0, v25, vcc
	v_add_u32_e32 v23, v25, v23
	v_cmp_lt_u32_e32 vcc, 1, v24
	s_nop 0
	v_mov_b32_dpp v25, v23 row_shr:2 row_mask:0xf bank_mask:0xf
	v_cndmask_b32_e32 v24, 0, v25, vcc
	v_add_u32_e32 v23, v23, v24
	ds_write_b32 v22, v23
.LBB2_4:
	s_or_b64 exec, exec, s[0:1]
	v_cmp_lt_u32_e32 vcc, 63, v0
	v_mov_b32_e32 v22, 0
	v_mov_b32_e32 v23, 0
	s_waitcnt lgkmcnt(0)
	s_barrier
	s_and_saveexec_b64 s[0:1], vcc
; %bb.5:
	v_lshl_add_u32 v20, v20, 2, -4
	ds_read_b32 v23, v20
; %bb.6:
	s_or_b64 exec, exec, s[0:1]
	s_waitcnt lgkmcnt(0)
	v_add_u32_e32 v20, v23, v21
	v_subrev_co_u32_e32 v21, vcc, 1, v19
	v_and_b32_e32 v24, 64, v19
	v_cmp_lt_i32_e64 s[0:1], v21, v24
	v_cndmask_b32_e64 v19, v21, v19, s[0:1]
	v_lshlrev_b32_e32 v19, 2, v19
	ds_bpermute_b32 v19, v19, v20
	ds_read_b32 v20, v22 offset:12
	v_mul_u32_u24_e32 v21, 9, v0
	v_lshlrev_b32_e32 v21, 2, v21
	s_waitcnt lgkmcnt(0)
	v_cndmask_b32_e32 v19, v19, v23, vcc
	v_cmp_ne_u32_e32 vcc, 0, v0
	v_cndmask_b32_e32 v19, 0, v19, vcc
	v_add_u32_e32 v13, v19, v13
	v_add_u32_e32 v14, v13, v14
	v_add_u32_e32 v15, v14, v15
	v_add_u32_e32 v16, v15, v16
	v_add_u32_e32 v9, v16, v9
	v_add_u32_e32 v10, v9, v10
	s_barrier
	v_add_u32_e32 v22, 0x2400, v21
	ds_write2_b32 v21, v5, v6 offset1:1
	ds_write2_b32 v22, v19, v13 offset1:1
	v_add_u32_e32 v5, 0x2408, v21
	v_add_u32_e32 v11, v10, v11
	ds_write2_b32 v21, v7, v8 offset0:2 offset1:3
	ds_write2_b32 v5, v14, v15 offset1:1
	v_add_u32_e32 v5, 0x2410, v21
	ds_write2_b32 v21, v1, v2 offset0:4 offset1:5
	ds_write2_b32 v5, v16, v9 offset1:1
	v_add_u32_e32 v1, 0x2418, v21
	v_cmp_eq_u32_e32 vcc, 0, v20
	s_mov_b32 s1, 0
	v_add_u32_e32 v12, v11, v12
	v_readfirstlane_b32 s6, v20
	ds_write2_b32 v21, v3, v4 offset0:6 offset1:7
	ds_write2_b32 v1, v10, v11 offset1:1
	v_add_u32_e32 v1, 32, v21
	ds_write2st64_b32 v1, v18, v12 offset1:36
	s_waitcnt lgkmcnt(0)
	s_barrier
	s_cbranch_vccnz .LBB2_59
; %bb.7:
	v_mul_lo_u32 v1, v17, 7
	s_load_dwordx2 s[2:3], s[4:5], 0x10
	v_mov_b32_e32 v2, 0
	ds_read_b32 v4, v2 offset:13824
	v_lshlrev_b64 v[2:3], 2, v[1:2]
	v_mul_u32_u24_e32 v0, 7, v0
	s_waitcnt lgkmcnt(0)
	v_mov_b32_e32 v6, s3
	v_add_co_u32_e32 v5, vcc, s2, v2
	v_addc_co_u32_e32 v6, vcc, v6, v3, vcc
	v_add_u32_e32 v7, 1, v1
	v_add_u32_e32 v8, 2, v1
	;; [unrolled: 1-line block ×6, first 2 shown]
	v_mov_b32_e32 v13, 0x481
	v_mov_b32_e32 v14, 0x900
	;; [unrolled: 1-line block ×5, first 2 shown]
	s_movk_i32 s7, 0x8ff
	s_mov_b32 s8, s6
	s_mov_b32 s0, s1
	s_branch .LBB2_9
.LBB2_8:                                ;   in Loop: Header=BB2_9 Depth=1
	s_or_b64 exec, exec, s[2:3]
	s_addk_i32 s0, 0x700
	s_addk_i32 s8, 0xf900
	s_cmp_lt_u32 s0, s6
	s_cbranch_scc0 .LBB2_59
.LBB2_9:                                ; =>This Inner Loop Header: Depth=1
	v_add_u32_e32 v2, s0, v0
	v_cmp_lt_u32_e32 vcc, v2, v4
	v_cndmask_b32_e32 v18, v16, v17, vcc
	v_lshlrev_b32_e32 v19, 2, v18
	ds_read_b32 v19, v19 offset:9216
	v_cndmask_b32_e64 v3, v13, 0, vcc
	v_cndmask_b32_e32 v20, v14, v15, vcc
	v_or_b32_e32 v21, 1, v18
	s_waitcnt lgkmcnt(0)
	v_cmp_lt_u32_e32 vcc, v2, v19
	v_cndmask_b32_e32 v3, v21, v3, vcc
	v_cndmask_b32_e32 v18, v20, v18, vcc
	v_sub_u32_e32 v19, v18, v3
	v_lshrrev_b16_e32 v20, 15, v19
	v_add_u16_e32 v19, v19, v20
	v_ashrrev_i16_e32 v19, 1, v19
	v_add_u32_sdwa v19, v3, sext(v19) dst_sel:DWORD dst_unused:UNUSED_PAD src0_sel:DWORD src1_sel:WORD_0
	v_min_i32_e32 v19, 0x8ff, v19
	v_lshlrev_b32_e32 v20, 2, v19
	ds_read_b32 v20, v20 offset:9216
	v_add_u32_e32 v21, 1, v19
	s_waitcnt lgkmcnt(0)
	v_cmp_lt_u32_e32 vcc, v2, v20
	v_cndmask_b32_e32 v3, v21, v3, vcc
	v_cndmask_b32_e32 v18, v18, v19, vcc
	v_sub_u32_e32 v19, v18, v3
	v_lshrrev_b16_e32 v20, 15, v19
	v_add_u16_e32 v19, v19, v20
	v_ashrrev_i16_e32 v19, 1, v19
	v_add_u32_sdwa v19, v3, sext(v19) dst_sel:DWORD dst_unused:UNUSED_PAD src0_sel:DWORD src1_sel:WORD_0
	v_min_i32_e32 v19, 0x8ff, v19
	v_lshlrev_b32_e32 v20, 2, v19
	ds_read_b32 v20, v20 offset:9216
	v_add_u32_e32 v21, 1, v19
	;; [unrolled: 13-line block ×7, first 2 shown]
	s_waitcnt lgkmcnt(0)
	v_cmp_lt_u32_e32 vcc, v2, v20
	v_cndmask_b32_e32 v3, v21, v3, vcc
	v_cndmask_b32_e32 v18, v18, v19, vcc
	v_sub_u32_e32 v19, v18, v3
	v_lshrrev_b32_e32 v20, 31, v19
	v_add_u32_e32 v19, v19, v20
	v_ashrrev_i32_e32 v19, 1, v19
	v_add_u32_e32 v19, v19, v3
	v_min_i32_e32 v19, 0x8ff, v19
	v_lshlrev_b32_e32 v20, 2, v19
	ds_read_b32 v20, v20 offset:9216
	v_add_u32_e32 v21, 1, v19
	s_waitcnt lgkmcnt(0)
	v_cmp_lt_u32_e32 vcc, v2, v20
	v_cndmask_b32_e32 v3, v21, v3, vcc
	v_cndmask_b32_e32 v18, v18, v19, vcc
	v_sub_u32_e32 v19, v18, v3
	v_lshrrev_b32_e32 v20, 31, v19
	v_add_u32_e32 v19, v19, v20
	v_ashrrev_i32_e32 v19, 1, v19
	v_add_u32_e32 v19, v19, v3
	v_min_i32_e32 v19, 0x8ff, v19
	v_lshlrev_b32_e32 v20, 2, v19
	ds_read_b32 v20, v20 offset:9216
	v_add_u32_e32 v21, 1, v19
	;; [unrolled: 13-line block ×4, first 2 shown]
	s_waitcnt lgkmcnt(0)
	v_cmp_lt_u32_e32 vcc, v2, v19
	v_cndmask_b32_e32 v20, v18, v3, vcc
	v_add_u32_e32 v3, -1, v20
	v_cmp_ne_u32_e32 vcc, s7, v3
                                        ; implicit-def: $vgpr19
	s_and_saveexec_b64 s[2:3], vcc
	s_xor_b64 s[2:3], exec, s[2:3]
; %bb.10:                               ;   in Loop: Header=BB2_9 Depth=1
	v_lshlrev_b32_e32 v18, 2, v20
	ds_read_b32 v19, v18 offset:9216
; %bb.11:                               ;   in Loop: Header=BB2_9 Depth=1
	s_andn2_saveexec_b64 s[2:3], s[2:3]
	s_cbranch_execz .LBB2_13
; %bb.12:                               ;   in Loop: Header=BB2_9 Depth=1
	s_waitcnt lgkmcnt(0)
	v_add_u32_e32 v19, 7, v2
.LBB2_13:                               ;   in Loop: Header=BB2_9 Depth=1
	s_or_b64 exec, exec, s[2:3]
	v_lshlrev_b32_e32 v18, 2, v3
	ds_read_b32 v18, v18
	s_waitcnt lgkmcnt(1)
	v_add_u32_e32 v23, -1, v19
	v_cmp_eq_u32_e32 vcc, v2, v23
	s_waitcnt lgkmcnt(0)
	v_mov_b32_e32 v19, v18
	s_and_saveexec_b64 s[2:3], vcc
	s_cbranch_execz .LBB2_19
; %bb.14:                               ;   in Loop: Header=BB2_9 Depth=1
	v_cmp_ne_u32_e32 vcc, s7, v20
	v_lshlrev_b32_e32 v3, 2, v20
                                        ; implicit-def: $vgpr21
	s_and_saveexec_b64 s[4:5], vcc
	s_xor_b64 s[4:5], exec, s[4:5]
; %bb.15:                               ;   in Loop: Header=BB2_9 Depth=1
	ds_read_b32 v21, v3 offset:9220
; %bb.16:                               ;   in Loop: Header=BB2_9 Depth=1
	s_andn2_saveexec_b64 s[4:5], s[4:5]
	s_cbranch_execz .LBB2_18
; %bb.17:                               ;   in Loop: Header=BB2_9 Depth=1
	s_waitcnt lgkmcnt(0)
	v_add_u32_e32 v21, 7, v2
.LBB2_18:                               ;   in Loop: Header=BB2_9 Depth=1
	s_or_b64 exec, exec, s[4:5]
	ds_read_b32 v19, v3
	s_waitcnt lgkmcnt(1)
	v_add_u32_e32 v23, -1, v21
	v_mov_b32_e32 v3, v20
.LBB2_19:                               ;   in Loop: Header=BB2_9 Depth=1
	s_or_b64 exec, exec, s[2:3]
	v_add_u32_e32 v20, 1, v2
	v_cmp_eq_u32_e32 vcc, v20, v23
	s_waitcnt lgkmcnt(0)
	v_mov_b32_e32 v20, v19
	s_and_saveexec_b64 s[2:3], vcc
	s_cbranch_execz .LBB2_25
; %bb.20:                               ;   in Loop: Header=BB2_9 Depth=1
	v_add_u32_e32 v21, 1, v3
	v_cmp_ne_u32_e32 vcc, s7, v21
	v_lshlrev_b32_e32 v3, 2, v3
                                        ; implicit-def: $vgpr22
	s_and_saveexec_b64 s[4:5], vcc
	s_xor_b64 s[4:5], exec, s[4:5]
; %bb.21:                               ;   in Loop: Header=BB2_9 Depth=1
	ds_read_b32 v22, v3 offset:9224
; %bb.22:                               ;   in Loop: Header=BB2_9 Depth=1
	s_andn2_saveexec_b64 s[4:5], s[4:5]
	s_cbranch_execz .LBB2_24
; %bb.23:                               ;   in Loop: Header=BB2_9 Depth=1
	s_waitcnt lgkmcnt(0)
	v_add_u32_e32 v22, 8, v2
.LBB2_24:                               ;   in Loop: Header=BB2_9 Depth=1
	s_or_b64 exec, exec, s[4:5]
	ds_read_b32 v20, v3 offset:4
	s_waitcnt lgkmcnt(1)
	v_add_u32_e32 v23, -1, v22
	v_mov_b32_e32 v3, v21
.LBB2_25:                               ;   in Loop: Header=BB2_9 Depth=1
	s_or_b64 exec, exec, s[2:3]
	v_add_u32_e32 v21, 2, v2
	v_cmp_eq_u32_e32 vcc, v21, v23
	s_waitcnt lgkmcnt(0)
	v_mov_b32_e32 v21, v20
	s_and_saveexec_b64 s[2:3], vcc
	s_cbranch_execz .LBB2_31
; %bb.26:                               ;   in Loop: Header=BB2_9 Depth=1
	v_add_u32_e32 v22, 1, v3
	v_cmp_ne_u32_e32 vcc, s7, v22
	v_lshlrev_b32_e32 v3, 2, v3
                                        ; implicit-def: $vgpr23
	s_and_saveexec_b64 s[4:5], vcc
	s_xor_b64 s[4:5], exec, s[4:5]
; %bb.27:                               ;   in Loop: Header=BB2_9 Depth=1
	ds_read_b32 v23, v3 offset:9224
; %bb.28:                               ;   in Loop: Header=BB2_9 Depth=1
	s_andn2_saveexec_b64 s[4:5], s[4:5]
	s_cbranch_execz .LBB2_30
; %bb.29:                               ;   in Loop: Header=BB2_9 Depth=1
	s_waitcnt lgkmcnt(0)
	v_add_u32_e32 v23, 9, v2
.LBB2_30:                               ;   in Loop: Header=BB2_9 Depth=1
	s_or_b64 exec, exec, s[4:5]
	ds_read_b32 v21, v3 offset:4
	s_waitcnt lgkmcnt(1)
	v_add_u32_e32 v23, -1, v23
	v_mov_b32_e32 v3, v22
.LBB2_31:                               ;   in Loop: Header=BB2_9 Depth=1
	s_or_b64 exec, exec, s[2:3]
	v_add_u32_e32 v22, 3, v2
	v_cmp_eq_u32_e32 vcc, v22, v23
	s_waitcnt lgkmcnt(0)
	v_mov_b32_e32 v22, v21
	s_and_saveexec_b64 s[2:3], vcc
	s_cbranch_execz .LBB2_37
; %bb.32:                               ;   in Loop: Header=BB2_9 Depth=1
	v_add_u32_e32 v24, 1, v3
	v_cmp_ne_u32_e32 vcc, s7, v24
	v_lshlrev_b32_e32 v3, 2, v3
                                        ; implicit-def: $vgpr23
	s_and_saveexec_b64 s[4:5], vcc
	s_xor_b64 s[4:5], exec, s[4:5]
; %bb.33:                               ;   in Loop: Header=BB2_9 Depth=1
	ds_read_b32 v23, v3 offset:9224
; %bb.34:                               ;   in Loop: Header=BB2_9 Depth=1
	s_andn2_saveexec_b64 s[4:5], s[4:5]
	s_cbranch_execz .LBB2_36
; %bb.35:                               ;   in Loop: Header=BB2_9 Depth=1
	s_waitcnt lgkmcnt(0)
	v_add_u32_e32 v23, 10, v2
.LBB2_36:                               ;   in Loop: Header=BB2_9 Depth=1
	s_or_b64 exec, exec, s[4:5]
	ds_read_b32 v22, v3 offset:4
	s_waitcnt lgkmcnt(1)
	v_add_u32_e32 v23, -1, v23
	v_mov_b32_e32 v3, v24
.LBB2_37:                               ;   in Loop: Header=BB2_9 Depth=1
	;; [unrolled: 29-line block ×3, first 2 shown]
	s_or_b64 exec, exec, s[2:3]
	v_add_u32_e32 v2, 5, v2
	v_cmp_eq_u32_e32 vcc, v2, v23
	s_waitcnt lgkmcnt(0)
	v_mov_b32_e32 v23, v24
	s_and_saveexec_b64 s[2:3], vcc
; %bb.44:                               ;   in Loop: Header=BB2_9 Depth=1
	v_lshlrev_b32_e32 v2, 2, v3
	ds_read_b32 v23, v2 offset:4
; %bb.45:                               ;   in Loop: Header=BB2_9 Depth=1
	s_or_b64 exec, exec, s[2:3]
	s_lshl_b64 s[2:3], s[0:1], 2
	v_mov_b32_e32 v3, s3
	v_add_co_u32_e32 v2, vcc, s2, v5
	s_min_u32 s4, s8, 0x700
	v_addc_co_u32_e32 v3, vcc, v6, v3, vcc
	v_cmp_gt_u32_e32 vcc, s4, v1
	s_and_saveexec_b64 s[2:3], vcc
	s_cbranch_execnz .LBB2_52
; %bb.46:                               ;   in Loop: Header=BB2_9 Depth=1
	s_or_b64 exec, exec, s[2:3]
	v_cmp_gt_u32_e32 vcc, s4, v7
	s_and_saveexec_b64 s[2:3], vcc
	s_cbranch_execnz .LBB2_53
.LBB2_47:                               ;   in Loop: Header=BB2_9 Depth=1
	s_or_b64 exec, exec, s[2:3]
	v_cmp_gt_u32_e32 vcc, s4, v8
	s_and_saveexec_b64 s[2:3], vcc
	s_cbranch_execnz .LBB2_54
.LBB2_48:                               ;   in Loop: Header=BB2_9 Depth=1
	s_or_b64 exec, exec, s[2:3]
	v_cmp_gt_u32_e32 vcc, s4, v9
	s_and_saveexec_b64 s[2:3], vcc
	s_cbranch_execnz .LBB2_55
.LBB2_49:                               ;   in Loop: Header=BB2_9 Depth=1
	s_or_b64 exec, exec, s[2:3]
	v_cmp_gt_u32_e32 vcc, s4, v10
	s_and_saveexec_b64 s[2:3], vcc
	s_cbranch_execnz .LBB2_56
.LBB2_50:                               ;   in Loop: Header=BB2_9 Depth=1
	s_or_b64 exec, exec, s[2:3]
	v_cmp_gt_u32_e32 vcc, s4, v11
	s_and_saveexec_b64 s[2:3], vcc
	s_cbranch_execnz .LBB2_57
.LBB2_51:                               ;   in Loop: Header=BB2_9 Depth=1
	s_or_b64 exec, exec, s[2:3]
	v_cmp_gt_u32_e32 vcc, s4, v12
	s_and_saveexec_b64 s[2:3], vcc
	s_cbranch_execz .LBB2_8
	s_branch .LBB2_58
.LBB2_52:                               ;   in Loop: Header=BB2_9 Depth=1
	global_store_dword v[2:3], v18, off
	s_or_b64 exec, exec, s[2:3]
	v_cmp_gt_u32_e32 vcc, s4, v7
	s_and_saveexec_b64 s[2:3], vcc
	s_cbranch_execz .LBB2_47
.LBB2_53:                               ;   in Loop: Header=BB2_9 Depth=1
	global_store_dword v[2:3], v19, off offset:4
	s_or_b64 exec, exec, s[2:3]
	v_cmp_gt_u32_e32 vcc, s4, v8
	s_and_saveexec_b64 s[2:3], vcc
	s_cbranch_execz .LBB2_48
.LBB2_54:                               ;   in Loop: Header=BB2_9 Depth=1
	global_store_dword v[2:3], v20, off offset:8
	s_or_b64 exec, exec, s[2:3]
	v_cmp_gt_u32_e32 vcc, s4, v9
	s_and_saveexec_b64 s[2:3], vcc
	s_cbranch_execz .LBB2_49
.LBB2_55:                               ;   in Loop: Header=BB2_9 Depth=1
	global_store_dword v[2:3], v21, off offset:12
	s_or_b64 exec, exec, s[2:3]
	v_cmp_gt_u32_e32 vcc, s4, v10
	s_and_saveexec_b64 s[2:3], vcc
	s_cbranch_execz .LBB2_50
.LBB2_56:                               ;   in Loop: Header=BB2_9 Depth=1
	global_store_dword v[2:3], v22, off offset:16
	s_or_b64 exec, exec, s[2:3]
	v_cmp_gt_u32_e32 vcc, s4, v11
	s_and_saveexec_b64 s[2:3], vcc
	s_cbranch_execz .LBB2_51
.LBB2_57:                               ;   in Loop: Header=BB2_9 Depth=1
	global_store_dword v[2:3], v24, off offset:20
	s_or_b64 exec, exec, s[2:3]
	v_cmp_gt_u32_e32 vcc, s4, v12
	s_and_saveexec_b64 s[2:3], vcc
	s_cbranch_execz .LBB2_8
.LBB2_58:                               ;   in Loop: Header=BB2_9 Depth=1
	s_waitcnt lgkmcnt(0)
	global_store_dword v[2:3], v23, off offset:24
	s_branch .LBB2_8
.LBB2_59:
	s_endpgm
	.section	.rodata,"a",@progbits
	.p2align	6, 0x0
	.amdhsa_kernel _Z30block_run_length_decode_kernelIfiLj256ELj9ELj7EEvPKT_PKT0_PS0_
		.amdhsa_group_segment_fixed_size 18432
		.amdhsa_private_segment_fixed_size 0
		.amdhsa_kernarg_size 24
		.amdhsa_user_sgpr_count 6
		.amdhsa_user_sgpr_private_segment_buffer 1
		.amdhsa_user_sgpr_dispatch_ptr 0
		.amdhsa_user_sgpr_queue_ptr 0
		.amdhsa_user_sgpr_kernarg_segment_ptr 1
		.amdhsa_user_sgpr_dispatch_id 0
		.amdhsa_user_sgpr_flat_scratch_init 0
		.amdhsa_user_sgpr_private_segment_size 0
		.amdhsa_uses_dynamic_stack 0
		.amdhsa_system_sgpr_private_segment_wavefront_offset 0
		.amdhsa_system_sgpr_workgroup_id_x 1
		.amdhsa_system_sgpr_workgroup_id_y 0
		.amdhsa_system_sgpr_workgroup_id_z 0
		.amdhsa_system_sgpr_workgroup_info 0
		.amdhsa_system_vgpr_workitem_id 0
		.amdhsa_next_free_vgpr 65
		.amdhsa_next_free_sgpr 98
		.amdhsa_reserve_vcc 1
		.amdhsa_reserve_flat_scratch 0
		.amdhsa_float_round_mode_32 0
		.amdhsa_float_round_mode_16_64 0
		.amdhsa_float_denorm_mode_32 3
		.amdhsa_float_denorm_mode_16_64 3
		.amdhsa_dx10_clamp 1
		.amdhsa_ieee_mode 1
		.amdhsa_fp16_overflow 0
		.amdhsa_exception_fp_ieee_invalid_op 0
		.amdhsa_exception_fp_denorm_src 0
		.amdhsa_exception_fp_ieee_div_zero 0
		.amdhsa_exception_fp_ieee_overflow 0
		.amdhsa_exception_fp_ieee_underflow 0
		.amdhsa_exception_fp_ieee_inexact 0
		.amdhsa_exception_int_div_zero 0
	.end_amdhsa_kernel
	.section	.text._Z30block_run_length_decode_kernelIfiLj256ELj9ELj7EEvPKT_PKT0_PS0_,"axG",@progbits,_Z30block_run_length_decode_kernelIfiLj256ELj9ELj7EEvPKT_PKT0_PS0_,comdat
.Lfunc_end2:
	.size	_Z30block_run_length_decode_kernelIfiLj256ELj9ELj7EEvPKT_PKT0_PS0_, .Lfunc_end2-_Z30block_run_length_decode_kernelIfiLj256ELj9ELj7EEvPKT_PKT0_PS0_
                                        ; -- End function
	.set _Z30block_run_length_decode_kernelIfiLj256ELj9ELj7EEvPKT_PKT0_PS0_.num_vgpr, 26
	.set _Z30block_run_length_decode_kernelIfiLj256ELj9ELj7EEvPKT_PKT0_PS0_.num_agpr, 0
	.set _Z30block_run_length_decode_kernelIfiLj256ELj9ELj7EEvPKT_PKT0_PS0_.numbered_sgpr, 9
	.set _Z30block_run_length_decode_kernelIfiLj256ELj9ELj7EEvPKT_PKT0_PS0_.num_named_barrier, 0
	.set _Z30block_run_length_decode_kernelIfiLj256ELj9ELj7EEvPKT_PKT0_PS0_.private_seg_size, 0
	.set _Z30block_run_length_decode_kernelIfiLj256ELj9ELj7EEvPKT_PKT0_PS0_.uses_vcc, 1
	.set _Z30block_run_length_decode_kernelIfiLj256ELj9ELj7EEvPKT_PKT0_PS0_.uses_flat_scratch, 0
	.set _Z30block_run_length_decode_kernelIfiLj256ELj9ELj7EEvPKT_PKT0_PS0_.has_dyn_sized_stack, 0
	.set _Z30block_run_length_decode_kernelIfiLj256ELj9ELj7EEvPKT_PKT0_PS0_.has_recursion, 0
	.set _Z30block_run_length_decode_kernelIfiLj256ELj9ELj7EEvPKT_PKT0_PS0_.has_indirect_call, 0
	.section	.AMDGPU.csdata,"",@progbits
; Kernel info:
; codeLenInByte = 2512
; TotalNumSgprs: 13
; NumVgprs: 26
; ScratchSize: 0
; MemoryBound: 0
; FloatMode: 240
; IeeeMode: 1
; LDSByteSize: 18432 bytes/workgroup (compile time only)
; SGPRBlocks: 12
; VGPRBlocks: 16
; NumSGPRsForWavesPerEU: 102
; NumVGPRsForWavesPerEU: 65
; Occupancy: 3
; WaveLimiterHint : 0
; COMPUTE_PGM_RSRC2:SCRATCH_EN: 0
; COMPUTE_PGM_RSRC2:USER_SGPR: 6
; COMPUTE_PGM_RSRC2:TRAP_HANDLER: 0
; COMPUTE_PGM_RSRC2:TGID_X_EN: 1
; COMPUTE_PGM_RSRC2:TGID_Y_EN: 0
; COMPUTE_PGM_RSRC2:TGID_Z_EN: 0
; COMPUTE_PGM_RSRC2:TIDIG_COMP_CNT: 0
	.section	.text._Z30block_run_length_decode_kernelIcxLj256ELj9ELj7EEvPKT_PKT0_PS0_,"axG",@progbits,_Z30block_run_length_decode_kernelIcxLj256ELj9ELj7EEvPKT_PKT0_PS0_,comdat
	.protected	_Z30block_run_length_decode_kernelIcxLj256ELj9ELj7EEvPKT_PKT0_PS0_ ; -- Begin function _Z30block_run_length_decode_kernelIcxLj256ELj9ELj7EEvPKT_PKT0_PS0_
	.globl	_Z30block_run_length_decode_kernelIcxLj256ELj9ELj7EEvPKT_PKT0_PS0_
	.p2align	8
	.type	_Z30block_run_length_decode_kernelIcxLj256ELj9ELj7EEvPKT_PKT0_PS0_,@function
_Z30block_run_length_decode_kernelIcxLj256ELj9ELj7EEvPKT_PKT0_PS0_: ; @_Z30block_run_length_decode_kernelIcxLj256ELj9ELj7EEvPKT_PKT0_PS0_
; %bb.0:
	s_load_dwordx4 s[0:3], s[4:5], 0x0
	v_lshl_or_b32 v17, s6, 8, v0
	v_lshl_add_u32 v18, v17, 3, v17
	v_mov_b32_e32 v19, 0
	v_lshlrev_b64 v[1:2], 3, v[18:19]
	s_waitcnt lgkmcnt(0)
	v_mov_b32_e32 v3, s3
	v_add_co_u32_e32 v19, vcc, s2, v1
	v_addc_co_u32_e32 v20, vcc, v3, v2, vcc
	global_load_dwordx4 v[9:12], v[19:20], off offset:16
	global_load_dwordx4 v[12:15], v[19:20], off
	global_load_dwordx4 v[5:8], v[19:20], off offset:32
	global_load_dwordx4 v[1:4], v[19:20], off offset:48
	global_load_dword v8, v[19:20], off offset:64
	global_load_ubyte v2, v18, s[0:1] offset:8
	global_load_dwordx2 v[15:16], v18, s[0:1]
	s_waitcnt vmcnt(3)
	v_mbcnt_lo_u32_b32 v4, -1, 0
	v_mbcnt_hi_u32_b32 v4, -1, v4
	v_and_b32_e32 v13, 15, v4
	v_cmp_ne_u32_e32 vcc, 0, v13
	v_bfe_i32 v18, v4, 4, 1
	v_or_b32_e32 v10, 63, v0
	v_lshrrev_b32_e32 v6, 6, v0
	v_add3_u32 v19, v14, v12, v9
	v_add3_u32 v19, v19, v11, v5
	;; [unrolled: 1-line block ×3, first 2 shown]
	s_waitcnt vmcnt(2)
	v_add3_u32 v8, v19, v3, v8
	s_nop 1
	v_mov_b32_dpp v19, v8 row_shr:1 row_mask:0xf bank_mask:0xf
	v_cndmask_b32_e32 v19, 0, v19, vcc
	v_add_u32_e32 v8, v19, v8
	v_cmp_lt_u32_e32 vcc, 1, v13
	s_nop 0
	v_mov_b32_dpp v19, v8 row_shr:2 row_mask:0xf bank_mask:0xf
	v_cndmask_b32_e32 v19, 0, v19, vcc
	v_add_u32_e32 v8, v8, v19
	v_cmp_lt_u32_e32 vcc, 3, v13
	;; [unrolled: 5-line block ×4, first 2 shown]
	s_nop 0
	v_mov_b32_dpp v13, v8 row_bcast:15 row_mask:0xf bank_mask:0xf
	v_and_b32_e32 v13, v18, v13
	v_add_u32_e32 v8, v8, v13
	s_nop 1
	v_mov_b32_dpp v13, v8 row_bcast:31 row_mask:0xf bank_mask:0xf
	v_cndmask_b32_e32 v13, 0, v13, vcc
	v_add_u32_e32 v8, v8, v13
	v_cmp_eq_u32_e32 vcc, v0, v10
	s_and_saveexec_b64 s[0:1], vcc
; %bb.1:
	v_lshlrev_b32_e32 v10, 2, v6
	ds_write_b32 v10, v8
; %bb.2:
	s_or_b64 exec, exec, s[0:1]
	v_cmp_gt_u32_e32 vcc, 4, v0
	s_waitcnt vmcnt(0) lgkmcnt(0)
	s_barrier
	s_and_saveexec_b64 s[0:1], vcc
	s_cbranch_execz .LBB3_4
; %bb.3:
	v_lshlrev_b32_e32 v10, 2, v0
	ds_read_b32 v13, v10
	v_and_b32_e32 v18, 3, v4
	v_cmp_ne_u32_e32 vcc, 0, v18
	s_waitcnt lgkmcnt(0)
	v_mov_b32_dpp v19, v13 row_shr:1 row_mask:0xf bank_mask:0xf
	v_cndmask_b32_e32 v19, 0, v19, vcc
	v_add_u32_e32 v13, v19, v13
	v_cmp_lt_u32_e32 vcc, 1, v18
	s_nop 0
	v_mov_b32_dpp v19, v13 row_shr:2 row_mask:0xf bank_mask:0xf
	v_cndmask_b32_e32 v18, 0, v19, vcc
	v_add_u32_e32 v13, v13, v18
	ds_write_b32 v10, v13
.LBB3_4:
	s_or_b64 exec, exec, s[0:1]
	v_cmp_lt_u32_e32 vcc, 63, v0
	v_mov_b32_e32 v10, 0
	v_mov_b32_e32 v13, 0
	s_waitcnt lgkmcnt(0)
	s_barrier
	s_and_saveexec_b64 s[0:1], vcc
; %bb.5:
	v_lshl_add_u32 v6, v6, 2, -4
	ds_read_b32 v13, v6
; %bb.6:
	s_or_b64 exec, exec, s[0:1]
	s_waitcnt lgkmcnt(0)
	v_add_u32_e32 v6, v13, v8
	v_subrev_co_u32_e32 v8, vcc, 1, v4
	v_and_b32_e32 v18, 64, v4
	v_cmp_lt_i32_e64 s[0:1], v8, v18
	v_cndmask_b32_e64 v4, v8, v4, s[0:1]
	v_lshlrev_b32_e32 v4, 2, v4
	ds_bpermute_b32 v4, v4, v6
	ds_read_b32 v10, v10 offset:12
	s_movk_i32 s0, 0xffe5
	s_waitcnt lgkmcnt(0)
	s_barrier
	v_cndmask_b32_e32 v4, v4, v13, vcc
	v_cmp_ne_u32_e32 vcc, 0, v0
	v_cndmask_b32_e32 v4, 0, v4, vcc
	v_add_u32_e32 v6, v4, v12
	v_add_u32_e32 v8, v6, v14
	v_mul_u32_u24_e32 v13, 27, v0
	v_add_u32_e32 v9, v8, v9
	v_mad_u32_u24 v13, v0, 9, v13
	v_add_u32_e32 v11, v9, v11
	v_add_u32_e32 v14, 0x900, v13
	;; [unrolled: 1-line block ×3, first 2 shown]
	v_mul_u32_u24_e32 v12, 9, v0
	ds_write2_b32 v14, v4, v6 offset1:1
	ds_write_b32 v13, v8 offset:2312
	ds_write_b32 v12, v15
	ds_write_b32 v13, v9 offset:2316
	v_mad_i32_i24 v4, v0, s0, v13
	v_add_u32_e32 v7, v5, v7
	v_mad_u32_u24 v6, v0, 27, v4
	v_add_u32_e32 v1, v7, v1
	v_add_u32_e32 v8, 0x910, v6
	;; [unrolled: 1-line block ×3, first 2 shown]
	ds_write2_b32 v8, v11, v5 offset1:1
	ds_write_b32 v6, v7 offset:2328
	ds_write_b32 v4, v16 offset:4
	;; [unrolled: 1-line block ×3, first 2 shown]
	v_mad_i32_i24 v1, v0, s0, v6
	v_cmp_eq_u32_e32 vcc, 0, v10
	s_mov_b32 s6, 0
	v_readfirstlane_b32 s7, v10
	ds_write_b8 v1, v2 offset:8
	v_mad_u32_u24 v1, v0, 27, v1
	ds_write_b32 v1, v3 offset:2336
	s_waitcnt lgkmcnt(0)
	s_barrier
	s_cbranch_vccnz .LBB3_59
; %bb.7:
	s_load_dwordx2 s[0:1], s[4:5], 0x10
	v_mul_u32_u24_e32 v2, 7, v0
	v_mul_lo_u32 v3, v17, 7
	v_mov_b32_e32 v0, 0
	ds_read_b32 v12, v0 offset:6912
	s_waitcnt lgkmcnt(0)
	v_mov_b32_e32 v1, s1
	v_add_co_u32_e32 v4, vcc, s0, v3
	v_addc_co_u32_e32 v5, vcc, 0, v1, vcc
	v_add_u32_e32 v6, 1, v3
	v_add_u32_e32 v7, 2, v3
	;; [unrolled: 1-line block ×6, first 2 shown]
	v_mov_b32_e32 v13, 0x481
	v_mov_b32_e32 v14, 0x900
	;; [unrolled: 1-line block ×5, first 2 shown]
	s_movk_i32 s4, 0x8ff
	s_mov_b32 s5, s7
	s_branch .LBB3_9
.LBB3_8:                                ;   in Loop: Header=BB3_9 Depth=1
	s_or_b64 exec, exec, s[0:1]
	s_addk_i32 s6, 0x700
	s_addk_i32 s5, 0xf900
	s_cmp_lt_u32 s6, s7
	s_cbranch_scc0 .LBB3_59
.LBB3_9:                                ; =>This Inner Loop Header: Depth=1
	v_add_u32_e32 v0, s6, v2
	v_cmp_lt_u32_e32 vcc, v0, v12
	v_cndmask_b32_e32 v18, v16, v17, vcc
	v_lshlrev_b32_e32 v19, 2, v18
	ds_read_b32 v19, v19 offset:2304
	v_cndmask_b32_e64 v1, v13, 0, vcc
	v_cndmask_b32_e32 v20, v14, v15, vcc
	v_or_b32_e32 v21, 1, v18
	s_waitcnt lgkmcnt(0)
	v_cmp_lt_u32_e32 vcc, v0, v19
	v_cndmask_b32_e32 v1, v21, v1, vcc
	v_cndmask_b32_e32 v18, v20, v18, vcc
	v_sub_u32_e32 v19, v18, v1
	v_lshrrev_b16_e32 v20, 15, v19
	v_add_u16_e32 v19, v19, v20
	v_ashrrev_i16_e32 v19, 1, v19
	v_add_u32_sdwa v19, v1, sext(v19) dst_sel:DWORD dst_unused:UNUSED_PAD src0_sel:DWORD src1_sel:WORD_0
	v_min_i32_e32 v19, 0x8ff, v19
	v_lshlrev_b32_e32 v20, 2, v19
	ds_read_b32 v20, v20 offset:2304
	v_add_u32_e32 v21, 1, v19
	s_waitcnt lgkmcnt(0)
	v_cmp_lt_u32_e32 vcc, v0, v20
	v_cndmask_b32_e32 v1, v21, v1, vcc
	v_cndmask_b32_e32 v18, v18, v19, vcc
	v_sub_u32_e32 v19, v18, v1
	v_lshrrev_b16_e32 v20, 15, v19
	v_add_u16_e32 v19, v19, v20
	v_ashrrev_i16_e32 v19, 1, v19
	v_add_u32_sdwa v19, v1, sext(v19) dst_sel:DWORD dst_unused:UNUSED_PAD src0_sel:DWORD src1_sel:WORD_0
	v_min_i32_e32 v19, 0x8ff, v19
	v_lshlrev_b32_e32 v20, 2, v19
	ds_read_b32 v20, v20 offset:2304
	v_add_u32_e32 v21, 1, v19
	;; [unrolled: 13-line block ×7, first 2 shown]
	s_waitcnt lgkmcnt(0)
	v_cmp_lt_u32_e32 vcc, v0, v20
	v_cndmask_b32_e32 v1, v21, v1, vcc
	v_cndmask_b32_e32 v18, v18, v19, vcc
	v_sub_u32_e32 v19, v18, v1
	v_lshrrev_b32_e32 v20, 31, v19
	v_add_u32_e32 v19, v19, v20
	v_ashrrev_i32_e32 v19, 1, v19
	v_add_u32_e32 v19, v19, v1
	v_min_i32_e32 v19, 0x8ff, v19
	v_lshlrev_b32_e32 v20, 2, v19
	ds_read_b32 v20, v20 offset:2304
	v_add_u32_e32 v21, 1, v19
	s_waitcnt lgkmcnt(0)
	v_cmp_lt_u32_e32 vcc, v0, v20
	v_cndmask_b32_e32 v1, v21, v1, vcc
	v_cndmask_b32_e32 v18, v18, v19, vcc
	v_sub_u32_e32 v19, v18, v1
	v_lshrrev_b32_e32 v20, 31, v19
	v_add_u32_e32 v19, v19, v20
	v_ashrrev_i32_e32 v19, 1, v19
	v_add_u32_e32 v19, v19, v1
	v_min_i32_e32 v19, 0x8ff, v19
	v_lshlrev_b32_e32 v20, 2, v19
	ds_read_b32 v20, v20 offset:2304
	v_add_u32_e32 v21, 1, v19
	;; [unrolled: 13-line block ×4, first 2 shown]
	s_waitcnt lgkmcnt(0)
	v_cmp_lt_u32_e32 vcc, v0, v19
	v_cndmask_b32_e32 v20, v18, v1, vcc
	v_add_u32_e32 v1, -1, v20
	v_cmp_ne_u32_e32 vcc, s4, v1
                                        ; implicit-def: $vgpr19
	s_and_saveexec_b64 s[0:1], vcc
	s_xor_b64 s[0:1], exec, s[0:1]
; %bb.10:                               ;   in Loop: Header=BB3_9 Depth=1
	v_lshlrev_b32_e32 v18, 2, v20
	ds_read_b32 v19, v18 offset:2304
; %bb.11:                               ;   in Loop: Header=BB3_9 Depth=1
	s_andn2_saveexec_b64 s[0:1], s[0:1]
	s_cbranch_execz .LBB3_13
; %bb.12:                               ;   in Loop: Header=BB3_9 Depth=1
	s_waitcnt lgkmcnt(0)
	v_add_u32_e32 v19, 7, v0
.LBB3_13:                               ;   in Loop: Header=BB3_9 Depth=1
	s_or_b64 exec, exec, s[0:1]
	ds_read_u8 v18, v1
	s_waitcnt lgkmcnt(1)
	v_add_u32_e32 v23, -1, v19
	v_cmp_eq_u32_e32 vcc, v0, v23
	s_waitcnt lgkmcnt(0)
	v_mov_b32_e32 v19, v18
	s_and_saveexec_b64 s[0:1], vcc
	s_cbranch_execz .LBB3_19
; %bb.14:                               ;   in Loop: Header=BB3_9 Depth=1
	v_cmp_ne_u32_e32 vcc, s4, v20
                                        ; implicit-def: $vgpr1
	s_and_saveexec_b64 s[2:3], vcc
	s_xor_b64 s[2:3], exec, s[2:3]
; %bb.15:                               ;   in Loop: Header=BB3_9 Depth=1
	v_lshlrev_b32_e32 v1, 2, v20
	ds_read_b32 v1, v1 offset:2308
; %bb.16:                               ;   in Loop: Header=BB3_9 Depth=1
	s_andn2_saveexec_b64 s[2:3], s[2:3]
	s_cbranch_execz .LBB3_18
; %bb.17:                               ;   in Loop: Header=BB3_9 Depth=1
	s_waitcnt lgkmcnt(0)
	v_add_u32_e32 v1, 7, v0
.LBB3_18:                               ;   in Loop: Header=BB3_9 Depth=1
	s_or_b64 exec, exec, s[2:3]
	ds_read_u8 v19, v20
	s_waitcnt lgkmcnt(1)
	v_add_u32_e32 v23, -1, v1
	v_mov_b32_e32 v1, v20
.LBB3_19:                               ;   in Loop: Header=BB3_9 Depth=1
	s_or_b64 exec, exec, s[0:1]
	v_add_u32_e32 v20, 1, v0
	v_cmp_eq_u32_e32 vcc, v20, v23
	s_waitcnt lgkmcnt(0)
	v_mov_b32_e32 v20, v19
	s_and_saveexec_b64 s[0:1], vcc
	s_cbranch_execz .LBB3_25
; %bb.20:                               ;   in Loop: Header=BB3_9 Depth=1
	v_add_u32_e32 v21, 1, v1
	v_cmp_ne_u32_e32 vcc, s4, v21
                                        ; implicit-def: $vgpr22
	s_and_saveexec_b64 s[2:3], vcc
	s_xor_b64 s[2:3], exec, s[2:3]
; %bb.21:                               ;   in Loop: Header=BB3_9 Depth=1
	v_lshlrev_b32_e32 v20, 2, v1
	ds_read_b32 v22, v20 offset:2312
; %bb.22:                               ;   in Loop: Header=BB3_9 Depth=1
	s_andn2_saveexec_b64 s[2:3], s[2:3]
	s_cbranch_execz .LBB3_24
; %bb.23:                               ;   in Loop: Header=BB3_9 Depth=1
	s_waitcnt lgkmcnt(0)
	v_add_u32_e32 v22, 8, v0
.LBB3_24:                               ;   in Loop: Header=BB3_9 Depth=1
	s_or_b64 exec, exec, s[2:3]
	ds_read_u8 v20, v1 offset:1
	s_waitcnt lgkmcnt(1)
	v_add_u32_e32 v23, -1, v22
	v_mov_b32_e32 v1, v21
.LBB3_25:                               ;   in Loop: Header=BB3_9 Depth=1
	s_or_b64 exec, exec, s[0:1]
	v_add_u32_e32 v21, 2, v0
	v_cmp_eq_u32_e32 vcc, v21, v23
	s_waitcnt lgkmcnt(0)
	v_mov_b32_e32 v21, v20
	s_and_saveexec_b64 s[0:1], vcc
	s_cbranch_execz .LBB3_31
; %bb.26:                               ;   in Loop: Header=BB3_9 Depth=1
	v_add_u32_e32 v22, 1, v1
	v_cmp_ne_u32_e32 vcc, s4, v22
                                        ; implicit-def: $vgpr23
	s_and_saveexec_b64 s[2:3], vcc
	s_xor_b64 s[2:3], exec, s[2:3]
; %bb.27:                               ;   in Loop: Header=BB3_9 Depth=1
	v_lshlrev_b32_e32 v21, 2, v1
	ds_read_b32 v23, v21 offset:2312
; %bb.28:                               ;   in Loop: Header=BB3_9 Depth=1
	s_andn2_saveexec_b64 s[2:3], s[2:3]
	s_cbranch_execz .LBB3_30
; %bb.29:                               ;   in Loop: Header=BB3_9 Depth=1
	s_waitcnt lgkmcnt(0)
	v_add_u32_e32 v23, 9, v0
.LBB3_30:                               ;   in Loop: Header=BB3_9 Depth=1
	s_or_b64 exec, exec, s[2:3]
	ds_read_u8 v21, v1 offset:1
	s_waitcnt lgkmcnt(1)
	v_add_u32_e32 v23, -1, v23
	v_mov_b32_e32 v1, v22
.LBB3_31:                               ;   in Loop: Header=BB3_9 Depth=1
	s_or_b64 exec, exec, s[0:1]
	v_add_u32_e32 v22, 3, v0
	v_cmp_eq_u32_e32 vcc, v22, v23
	s_waitcnt lgkmcnt(0)
	v_mov_b32_e32 v22, v21
	s_and_saveexec_b64 s[0:1], vcc
	s_cbranch_execz .LBB3_37
; %bb.32:                               ;   in Loop: Header=BB3_9 Depth=1
	v_add_u32_e32 v24, 1, v1
	v_cmp_ne_u32_e32 vcc, s4, v24
                                        ; implicit-def: $vgpr23
	s_and_saveexec_b64 s[2:3], vcc
	s_xor_b64 s[2:3], exec, s[2:3]
; %bb.33:                               ;   in Loop: Header=BB3_9 Depth=1
	v_lshlrev_b32_e32 v22, 2, v1
	ds_read_b32 v23, v22 offset:2312
; %bb.34:                               ;   in Loop: Header=BB3_9 Depth=1
	s_andn2_saveexec_b64 s[2:3], s[2:3]
	s_cbranch_execz .LBB3_36
; %bb.35:                               ;   in Loop: Header=BB3_9 Depth=1
	s_waitcnt lgkmcnt(0)
	v_add_u32_e32 v23, 10, v0
.LBB3_36:                               ;   in Loop: Header=BB3_9 Depth=1
	s_or_b64 exec, exec, s[2:3]
	ds_read_u8 v22, v1 offset:1
	s_waitcnt lgkmcnt(1)
	v_add_u32_e32 v23, -1, v23
	v_mov_b32_e32 v1, v24
.LBB3_37:                               ;   in Loop: Header=BB3_9 Depth=1
	;; [unrolled: 29-line block ×3, first 2 shown]
	s_or_b64 exec, exec, s[0:1]
	v_add_u32_e32 v0, 5, v0
	v_cmp_eq_u32_e32 vcc, v0, v23
	s_waitcnt lgkmcnt(0)
	v_mov_b32_e32 v23, v24
	s_and_saveexec_b64 s[0:1], vcc
; %bb.44:                               ;   in Loop: Header=BB3_9 Depth=1
	ds_read_u8 v23, v1 offset:1
; %bb.45:                               ;   in Loop: Header=BB3_9 Depth=1
	s_or_b64 exec, exec, s[0:1]
	v_add_co_u32_e32 v0, vcc, s6, v4
	s_min_u32 s2, s5, 0x700
	v_addc_co_u32_e32 v1, vcc, 0, v5, vcc
	v_cmp_gt_u32_e32 vcc, s2, v3
	s_and_saveexec_b64 s[0:1], vcc
	s_cbranch_execnz .LBB3_52
; %bb.46:                               ;   in Loop: Header=BB3_9 Depth=1
	s_or_b64 exec, exec, s[0:1]
	v_cmp_gt_u32_e32 vcc, s2, v6
	s_and_saveexec_b64 s[0:1], vcc
	s_cbranch_execnz .LBB3_53
.LBB3_47:                               ;   in Loop: Header=BB3_9 Depth=1
	s_or_b64 exec, exec, s[0:1]
	v_cmp_gt_u32_e32 vcc, s2, v7
	s_and_saveexec_b64 s[0:1], vcc
	s_cbranch_execnz .LBB3_54
.LBB3_48:                               ;   in Loop: Header=BB3_9 Depth=1
	s_or_b64 exec, exec, s[0:1]
	v_cmp_gt_u32_e32 vcc, s2, v8
	s_and_saveexec_b64 s[0:1], vcc
	s_cbranch_execnz .LBB3_55
.LBB3_49:                               ;   in Loop: Header=BB3_9 Depth=1
	s_or_b64 exec, exec, s[0:1]
	v_cmp_gt_u32_e32 vcc, s2, v9
	s_and_saveexec_b64 s[0:1], vcc
	s_cbranch_execnz .LBB3_56
.LBB3_50:                               ;   in Loop: Header=BB3_9 Depth=1
	s_or_b64 exec, exec, s[0:1]
	v_cmp_gt_u32_e32 vcc, s2, v10
	s_and_saveexec_b64 s[0:1], vcc
	s_cbranch_execnz .LBB3_57
.LBB3_51:                               ;   in Loop: Header=BB3_9 Depth=1
	s_or_b64 exec, exec, s[0:1]
	v_cmp_gt_u32_e32 vcc, s2, v11
	s_and_saveexec_b64 s[0:1], vcc
	s_cbranch_execz .LBB3_8
	s_branch .LBB3_58
.LBB3_52:                               ;   in Loop: Header=BB3_9 Depth=1
	global_store_byte v[0:1], v18, off
	s_or_b64 exec, exec, s[0:1]
	v_cmp_gt_u32_e32 vcc, s2, v6
	s_and_saveexec_b64 s[0:1], vcc
	s_cbranch_execz .LBB3_47
.LBB3_53:                               ;   in Loop: Header=BB3_9 Depth=1
	global_store_byte v[0:1], v19, off offset:1
	s_or_b64 exec, exec, s[0:1]
	v_cmp_gt_u32_e32 vcc, s2, v7
	s_and_saveexec_b64 s[0:1], vcc
	s_cbranch_execz .LBB3_48
.LBB3_54:                               ;   in Loop: Header=BB3_9 Depth=1
	global_store_byte v[0:1], v20, off offset:2
	s_or_b64 exec, exec, s[0:1]
	v_cmp_gt_u32_e32 vcc, s2, v8
	s_and_saveexec_b64 s[0:1], vcc
	s_cbranch_execz .LBB3_49
.LBB3_55:                               ;   in Loop: Header=BB3_9 Depth=1
	global_store_byte v[0:1], v21, off offset:3
	s_or_b64 exec, exec, s[0:1]
	v_cmp_gt_u32_e32 vcc, s2, v9
	s_and_saveexec_b64 s[0:1], vcc
	s_cbranch_execz .LBB3_50
.LBB3_56:                               ;   in Loop: Header=BB3_9 Depth=1
	global_store_byte v[0:1], v22, off offset:4
	s_or_b64 exec, exec, s[0:1]
	v_cmp_gt_u32_e32 vcc, s2, v10
	s_and_saveexec_b64 s[0:1], vcc
	s_cbranch_execz .LBB3_51
.LBB3_57:                               ;   in Loop: Header=BB3_9 Depth=1
	global_store_byte v[0:1], v24, off offset:5
	s_or_b64 exec, exec, s[0:1]
	v_cmp_gt_u32_e32 vcc, s2, v11
	s_and_saveexec_b64 s[0:1], vcc
	s_cbranch_execz .LBB3_8
.LBB3_58:                               ;   in Loop: Header=BB3_9 Depth=1
	s_waitcnt lgkmcnt(0)
	global_store_byte v[0:1], v23, off offset:6
	s_branch .LBB3_8
.LBB3_59:
	s_endpgm
	.section	.rodata,"a",@progbits
	.p2align	6, 0x0
	.amdhsa_kernel _Z30block_run_length_decode_kernelIcxLj256ELj9ELj7EEvPKT_PKT0_PS0_
		.amdhsa_group_segment_fixed_size 11520
		.amdhsa_private_segment_fixed_size 0
		.amdhsa_kernarg_size 24
		.amdhsa_user_sgpr_count 6
		.amdhsa_user_sgpr_private_segment_buffer 1
		.amdhsa_user_sgpr_dispatch_ptr 0
		.amdhsa_user_sgpr_queue_ptr 0
		.amdhsa_user_sgpr_kernarg_segment_ptr 1
		.amdhsa_user_sgpr_dispatch_id 0
		.amdhsa_user_sgpr_flat_scratch_init 0
		.amdhsa_user_sgpr_private_segment_size 0
		.amdhsa_uses_dynamic_stack 0
		.amdhsa_system_sgpr_private_segment_wavefront_offset 0
		.amdhsa_system_sgpr_workgroup_id_x 1
		.amdhsa_system_sgpr_workgroup_id_y 0
		.amdhsa_system_sgpr_workgroup_id_z 0
		.amdhsa_system_sgpr_workgroup_info 0
		.amdhsa_system_vgpr_workitem_id 0
		.amdhsa_next_free_vgpr 41
		.amdhsa_next_free_sgpr 98
		.amdhsa_reserve_vcc 1
		.amdhsa_reserve_flat_scratch 0
		.amdhsa_float_round_mode_32 0
		.amdhsa_float_round_mode_16_64 0
		.amdhsa_float_denorm_mode_32 3
		.amdhsa_float_denorm_mode_16_64 3
		.amdhsa_dx10_clamp 1
		.amdhsa_ieee_mode 1
		.amdhsa_fp16_overflow 0
		.amdhsa_exception_fp_ieee_invalid_op 0
		.amdhsa_exception_fp_denorm_src 0
		.amdhsa_exception_fp_ieee_div_zero 0
		.amdhsa_exception_fp_ieee_overflow 0
		.amdhsa_exception_fp_ieee_underflow 0
		.amdhsa_exception_fp_ieee_inexact 0
		.amdhsa_exception_int_div_zero 0
	.end_amdhsa_kernel
	.section	.text._Z30block_run_length_decode_kernelIcxLj256ELj9ELj7EEvPKT_PKT0_PS0_,"axG",@progbits,_Z30block_run_length_decode_kernelIcxLj256ELj9ELj7EEvPKT_PKT0_PS0_,comdat
.Lfunc_end3:
	.size	_Z30block_run_length_decode_kernelIcxLj256ELj9ELj7EEvPKT_PKT0_PS0_, .Lfunc_end3-_Z30block_run_length_decode_kernelIcxLj256ELj9ELj7EEvPKT_PKT0_PS0_
                                        ; -- End function
	.set _Z30block_run_length_decode_kernelIcxLj256ELj9ELj7EEvPKT_PKT0_PS0_.num_vgpr, 26
	.set _Z30block_run_length_decode_kernelIcxLj256ELj9ELj7EEvPKT_PKT0_PS0_.num_agpr, 0
	.set _Z30block_run_length_decode_kernelIcxLj256ELj9ELj7EEvPKT_PKT0_PS0_.numbered_sgpr, 8
	.set _Z30block_run_length_decode_kernelIcxLj256ELj9ELj7EEvPKT_PKT0_PS0_.num_named_barrier, 0
	.set _Z30block_run_length_decode_kernelIcxLj256ELj9ELj7EEvPKT_PKT0_PS0_.private_seg_size, 0
	.set _Z30block_run_length_decode_kernelIcxLj256ELj9ELj7EEvPKT_PKT0_PS0_.uses_vcc, 1
	.set _Z30block_run_length_decode_kernelIcxLj256ELj9ELj7EEvPKT_PKT0_PS0_.uses_flat_scratch, 0
	.set _Z30block_run_length_decode_kernelIcxLj256ELj9ELj7EEvPKT_PKT0_PS0_.has_dyn_sized_stack, 0
	.set _Z30block_run_length_decode_kernelIcxLj256ELj9ELj7EEvPKT_PKT0_PS0_.has_recursion, 0
	.set _Z30block_run_length_decode_kernelIcxLj256ELj9ELj7EEvPKT_PKT0_PS0_.has_indirect_call, 0
	.section	.AMDGPU.csdata,"",@progbits
; Kernel info:
; codeLenInByte = 2508
; TotalNumSgprs: 12
; NumVgprs: 26
; ScratchSize: 0
; MemoryBound: 0
; FloatMode: 240
; IeeeMode: 1
; LDSByteSize: 11520 bytes/workgroup (compile time only)
; SGPRBlocks: 12
; VGPRBlocks: 10
; NumSGPRsForWavesPerEU: 102
; NumVGPRsForWavesPerEU: 41
; Occupancy: 5
; WaveLimiterHint : 0
; COMPUTE_PGM_RSRC2:SCRATCH_EN: 0
; COMPUTE_PGM_RSRC2:USER_SGPR: 6
; COMPUTE_PGM_RSRC2:TRAP_HANDLER: 0
; COMPUTE_PGM_RSRC2:TGID_X_EN: 1
; COMPUTE_PGM_RSRC2:TGID_Y_EN: 0
; COMPUTE_PGM_RSRC2:TGID_Z_EN: 0
; COMPUTE_PGM_RSRC2:TIDIG_COMP_CNT: 0
	.section	.text._Z30block_run_length_decode_kernelIdcLj256ELj9ELj7EEvPKT_PKT0_PS0_,"axG",@progbits,_Z30block_run_length_decode_kernelIdcLj256ELj9ELj7EEvPKT_PKT0_PS0_,comdat
	.protected	_Z30block_run_length_decode_kernelIdcLj256ELj9ELj7EEvPKT_PKT0_PS0_ ; -- Begin function _Z30block_run_length_decode_kernelIdcLj256ELj9ELj7EEvPKT_PKT0_PS0_
	.globl	_Z30block_run_length_decode_kernelIdcLj256ELj9ELj7EEvPKT_PKT0_PS0_
	.p2align	8
	.type	_Z30block_run_length_decode_kernelIdcLj256ELj9ELj7EEvPKT_PKT0_PS0_,@function
_Z30block_run_length_decode_kernelIdcLj256ELj9ELj7EEvPKT_PKT0_PS0_: ; @_Z30block_run_length_decode_kernelIdcLj256ELj9ELj7EEvPKT_PKT0_PS0_
; %bb.0:
	s_load_dwordx4 s[0:3], s[4:5], 0x0
	v_lshl_or_b32 v19, s6, 8, v0
	v_lshl_add_u32 v1, v19, 3, v19
	v_mov_b32_e32 v2, 0
	v_or_b32_e32 v31, 63, v0
	s_waitcnt lgkmcnt(0)
	global_load_dwordx2 v[23:24], v1, s[2:3]
	global_load_sbyte v30, v1, s[2:3] offset:8
	v_lshlrev_b64 v[1:2], 3, v[1:2]
	v_mov_b32_e32 v3, s1
	v_add_co_u32_e32 v20, vcc, s0, v1
	v_addc_co_u32_e32 v21, vcc, v3, v2, vcc
	global_load_dwordx4 v[1:4], v[20:21], off offset:48
	global_load_dwordx4 v[5:8], v[20:21], off offset:32
	;; [unrolled: 1-line block ×3, first 2 shown]
	global_load_dwordx4 v[13:16], v[20:21], off
	global_load_dwordx2 v[17:18], v[20:21], off offset:64
	v_mbcnt_lo_u32_b32 v20, -1, 0
	v_mbcnt_hi_u32_b32 v20, -1, v20
	v_and_b32_e32 v32, 15, v20
	v_cmp_ne_u32_e32 vcc, 0, v32
	v_bfe_i32 v33, v20, 4, 1
	v_lshrrev_b32_e32 v29, 6, v0
	s_waitcnt vmcnt(6)
	v_bfe_i32 v25, v23, 0, 8
	v_bfe_i32 v26, v23, 8, 8
	;; [unrolled: 1-line block ×3, first 2 shown]
	v_ashrrev_i32_e32 v28, 24, v23
	v_bfe_i32 v21, v24, 0, 8
	v_add3_u32 v34, v26, v25, v27
	v_bfe_i32 v22, v24, 8, 8
	v_bfe_i32 v23, v24, 16, 8
	v_add3_u32 v34, v34, v28, v21
	v_ashrrev_i32_e32 v24, 24, v24
	v_add3_u32 v34, v34, v22, v23
	s_waitcnt vmcnt(5)
	v_add3_u32 v30, v34, v24, v30
	s_nop 1
	v_mov_b32_dpp v34, v30 row_shr:1 row_mask:0xf bank_mask:0xf
	v_cndmask_b32_e32 v34, 0, v34, vcc
	v_add_u32_e32 v30, v34, v30
	v_cmp_lt_u32_e32 vcc, 1, v32
	s_nop 0
	v_mov_b32_dpp v34, v30 row_shr:2 row_mask:0xf bank_mask:0xf
	v_cndmask_b32_e32 v34, 0, v34, vcc
	v_add_u32_e32 v30, v30, v34
	v_cmp_lt_u32_e32 vcc, 3, v32
	;; [unrolled: 5-line block ×4, first 2 shown]
	s_nop 0
	v_mov_b32_dpp v32, v30 row_bcast:15 row_mask:0xf bank_mask:0xf
	v_and_b32_e32 v32, v33, v32
	v_add_u32_e32 v30, v30, v32
	s_nop 1
	v_mov_b32_dpp v32, v30 row_bcast:31 row_mask:0xf bank_mask:0xf
	v_cndmask_b32_e32 v32, 0, v32, vcc
	v_add_u32_e32 v30, v30, v32
	v_cmp_eq_u32_e32 vcc, v0, v31
	s_and_saveexec_b64 s[0:1], vcc
; %bb.1:
	v_lshlrev_b32_e32 v31, 2, v29
	ds_write_b32 v31, v30
; %bb.2:
	s_or_b64 exec, exec, s[0:1]
	v_cmp_gt_u32_e32 vcc, 4, v0
	s_waitcnt vmcnt(0) lgkmcnt(0)
	s_barrier
	s_and_saveexec_b64 s[0:1], vcc
	s_cbranch_execz .LBB4_4
; %bb.3:
	v_lshlrev_b32_e32 v31, 2, v0
	ds_read_b32 v32, v31
	v_and_b32_e32 v33, 3, v20
	v_cmp_ne_u32_e32 vcc, 0, v33
	s_waitcnt lgkmcnt(0)
	v_mov_b32_dpp v34, v32 row_shr:1 row_mask:0xf bank_mask:0xf
	v_cndmask_b32_e32 v34, 0, v34, vcc
	v_add_u32_e32 v32, v34, v32
	v_cmp_lt_u32_e32 vcc, 1, v33
	s_nop 0
	v_mov_b32_dpp v34, v32 row_shr:2 row_mask:0xf bank_mask:0xf
	v_cndmask_b32_e32 v33, 0, v34, vcc
	v_add_u32_e32 v32, v32, v33
	ds_write_b32 v31, v32
.LBB4_4:
	s_or_b64 exec, exec, s[0:1]
	v_cmp_lt_u32_e32 vcc, 63, v0
	v_mov_b32_e32 v31, 0
	v_mov_b32_e32 v32, 0
	s_waitcnt lgkmcnt(0)
	s_barrier
	s_and_saveexec_b64 s[0:1], vcc
; %bb.5:
	v_lshl_add_u32 v29, v29, 2, -4
	ds_read_b32 v32, v29
; %bb.6:
	s_or_b64 exec, exec, s[0:1]
	s_waitcnt lgkmcnt(0)
	v_add_u32_e32 v29, v32, v30
	v_subrev_co_u32_e32 v30, vcc, 1, v20
	v_and_b32_e32 v33, 64, v20
	v_cmp_lt_i32_e64 s[0:1], v30, v33
	v_cndmask_b32_e64 v20, v30, v20, s[0:1]
	v_lshlrev_b32_e32 v20, 2, v20
	ds_bpermute_b32 v20, v20, v29
	v_mul_u32_u24_e32 v30, 9, v0
	v_lshlrev_b32_e32 v30, 3, v30
	s_movk_i32 s0, 0xffdc
	ds_read_b32 v29, v31 offset:12
	s_waitcnt lgkmcnt(1)
	v_cndmask_b32_e32 v20, v20, v32, vcc
	v_cmp_ne_u32_e32 vcc, 0, v0
	v_cndmask_b32_e32 v20, 0, v20, vcc
	s_waitcnt lgkmcnt(0)
	s_barrier
	ds_write_b64 v30, v[13:14]
	v_mad_i32_i24 v13, v0, s0, v30
	ds_write_b32 v13, v20 offset:18432
	v_mad_u32_u24 v13, v0, 36, v13
	v_add_u32_e32 v25, v20, v25
	ds_write_b64 v13, v[15:16] offset:8
	v_mad_i32_i24 v13, v0, s0, v13
	ds_write_b32 v13, v25 offset:18436
	v_mad_u32_u24 v13, v0, 36, v13
	v_add_u32_e32 v26, v25, v26
	ds_write_b64 v13, v[9:10] offset:16
	;; [unrolled: 5-line block ×7, first 2 shown]
	v_mad_i32_i24 v1, v0, s0, v1
	ds_write_b32 v1, v23 offset:18460
	v_mad_u32_u24 v1, v0, 36, v1
	v_cmp_eq_u32_e32 vcc, 0, v29
	s_mov_b32 s1, 0
	v_add_u32_e32 v24, v23, v24
	v_readfirstlane_b32 s6, v29
	ds_write_b64 v1, v[17:18] offset:64
	v_mad_i32_i24 v1, v0, s0, v1
	ds_write_b32 v1, v24 offset:18464
	s_waitcnt lgkmcnt(0)
	s_barrier
	s_cbranch_vccnz .LBB4_59
; %bb.7:
	v_mul_lo_u32 v1, v19, 7
	s_load_dwordx2 s[2:3], s[4:5], 0x10
	v_mov_b32_e32 v2, 0
	ds_read_b32 v18, v2 offset:23040
	v_lshlrev_b64 v[2:3], 3, v[1:2]
	v_mul_u32_u24_e32 v0, 7, v0
	s_waitcnt lgkmcnt(0)
	v_mov_b32_e32 v4, s3
	v_add_co_u32_e32 v19, vcc, s2, v2
	v_addc_co_u32_e32 v20, vcc, v4, v3, vcc
	v_add_u32_e32 v21, 1, v1
	v_add_u32_e32 v22, 2, v1
	;; [unrolled: 1-line block ×6, first 2 shown]
	v_mov_b32_e32 v27, 0x481
	v_mov_b32_e32 v28, 0x900
	;; [unrolled: 1-line block ×5, first 2 shown]
	s_movk_i32 s7, 0x8ff
	s_mov_b32 s8, s6
	s_mov_b32 s0, s1
	s_branch .LBB4_9
.LBB4_8:                                ;   in Loop: Header=BB4_9 Depth=1
	s_or_b64 exec, exec, s[2:3]
	s_addk_i32 s0, 0x700
	s_addk_i32 s8, 0xf900
	s_cmp_lt_u32 s0, s6
	s_cbranch_scc0 .LBB4_59
.LBB4_9:                                ; =>This Inner Loop Header: Depth=1
	s_waitcnt lgkmcnt(0)
	v_add_u32_e32 v14, s0, v0
	v_cmp_lt_u32_e32 vcc, v14, v18
	v_cndmask_b32_e32 v3, v30, v31, vcc
	v_lshlrev_b32_e32 v4, 2, v3
	ds_read_b32 v4, v4 offset:18432
	v_cndmask_b32_e64 v2, v27, 0, vcc
	v_cndmask_b32_e32 v5, v28, v29, vcc
	v_or_b32_e32 v6, 1, v3
	s_waitcnt lgkmcnt(0)
	v_cmp_lt_u32_e32 vcc, v14, v4
	v_cndmask_b32_e32 v2, v6, v2, vcc
	v_cndmask_b32_e32 v3, v5, v3, vcc
	v_sub_u32_e32 v4, v3, v2
	v_lshrrev_b16_e32 v5, 15, v4
	v_add_u16_e32 v4, v4, v5
	v_ashrrev_i16_e32 v4, 1, v4
	v_add_u32_sdwa v4, v2, sext(v4) dst_sel:DWORD dst_unused:UNUSED_PAD src0_sel:DWORD src1_sel:WORD_0
	v_min_i32_e32 v4, 0x8ff, v4
	v_lshlrev_b32_e32 v5, 2, v4
	ds_read_b32 v5, v5 offset:18432
	v_add_u32_e32 v6, 1, v4
	s_waitcnt lgkmcnt(0)
	v_cmp_lt_u32_e32 vcc, v14, v5
	v_cndmask_b32_e32 v2, v6, v2, vcc
	v_cndmask_b32_e32 v3, v3, v4, vcc
	v_sub_u32_e32 v4, v3, v2
	v_lshrrev_b16_e32 v5, 15, v4
	v_add_u16_e32 v4, v4, v5
	v_ashrrev_i16_e32 v4, 1, v4
	v_add_u32_sdwa v4, v2, sext(v4) dst_sel:DWORD dst_unused:UNUSED_PAD src0_sel:DWORD src1_sel:WORD_0
	v_min_i32_e32 v4, 0x8ff, v4
	v_lshlrev_b32_e32 v5, 2, v4
	ds_read_b32 v5, v5 offset:18432
	v_add_u32_e32 v6, 1, v4
	;; [unrolled: 13-line block ×7, first 2 shown]
	s_waitcnt lgkmcnt(0)
	v_cmp_lt_u32_e32 vcc, v14, v5
	v_cndmask_b32_e32 v2, v6, v2, vcc
	v_cndmask_b32_e32 v3, v3, v4, vcc
	v_sub_u32_e32 v4, v3, v2
	v_lshrrev_b32_e32 v5, 31, v4
	v_add_u32_e32 v4, v4, v5
	v_ashrrev_i32_e32 v4, 1, v4
	v_add_u32_e32 v4, v4, v2
	v_min_i32_e32 v4, 0x8ff, v4
	v_lshlrev_b32_e32 v5, 2, v4
	ds_read_b32 v5, v5 offset:18432
	v_add_u32_e32 v6, 1, v4
	s_waitcnt lgkmcnt(0)
	v_cmp_lt_u32_e32 vcc, v14, v5
	v_cndmask_b32_e32 v2, v6, v2, vcc
	v_cndmask_b32_e32 v3, v3, v4, vcc
	v_sub_u32_e32 v4, v3, v2
	v_lshrrev_b32_e32 v5, 31, v4
	v_add_u32_e32 v4, v4, v5
	v_ashrrev_i32_e32 v4, 1, v4
	v_add_u32_e32 v4, v4, v2
	v_min_i32_e32 v4, 0x8ff, v4
	v_lshlrev_b32_e32 v5, 2, v4
	ds_read_b32 v5, v5 offset:18432
	v_add_u32_e32 v6, 1, v4
	;; [unrolled: 13-line block ×4, first 2 shown]
	s_waitcnt lgkmcnt(0)
	v_cmp_lt_u32_e32 vcc, v14, v4
	v_cndmask_b32_e32 v6, v3, v2, vcc
	v_add_u32_e32 v16, -1, v6
	v_cmp_ne_u32_e32 vcc, s7, v16
                                        ; implicit-def: $vgpr4
	s_and_saveexec_b64 s[2:3], vcc
	s_xor_b64 s[2:3], exec, s[2:3]
; %bb.10:                               ;   in Loop: Header=BB4_9 Depth=1
	v_lshlrev_b32_e32 v2, 2, v6
	ds_read_b32 v4, v2 offset:18432
; %bb.11:                               ;   in Loop: Header=BB4_9 Depth=1
	s_andn2_saveexec_b64 s[2:3], s[2:3]
	s_cbranch_execz .LBB4_13
; %bb.12:                               ;   in Loop: Header=BB4_9 Depth=1
	s_waitcnt lgkmcnt(0)
	v_add_u32_e32 v4, 7, v14
.LBB4_13:                               ;   in Loop: Header=BB4_9 Depth=1
	s_or_b64 exec, exec, s[2:3]
	v_lshlrev_b32_e32 v2, 3, v16
	ds_read_b64 v[2:3], v2
	s_waitcnt lgkmcnt(1)
	v_add_u32_e32 v15, -1, v4
	v_cmp_eq_u32_e32 vcc, v14, v15
	s_waitcnt lgkmcnt(0)
	v_mov_b32_e32 v5, v3
	v_mov_b32_e32 v4, v2
	s_and_saveexec_b64 s[2:3], vcc
	s_cbranch_execz .LBB4_19
; %bb.14:                               ;   in Loop: Header=BB4_9 Depth=1
	v_cmp_ne_u32_e32 vcc, s7, v6
                                        ; implicit-def: $vgpr7
	s_and_saveexec_b64 s[4:5], vcc
	s_xor_b64 s[4:5], exec, s[4:5]
; %bb.15:                               ;   in Loop: Header=BB4_9 Depth=1
	v_lshlrev_b32_e32 v4, 2, v6
	ds_read_b32 v7, v4 offset:18436
; %bb.16:                               ;   in Loop: Header=BB4_9 Depth=1
	s_andn2_saveexec_b64 s[4:5], s[4:5]
	s_cbranch_execz .LBB4_18
; %bb.17:                               ;   in Loop: Header=BB4_9 Depth=1
	s_waitcnt lgkmcnt(0)
	v_add_u32_e32 v7, 7, v14
.LBB4_18:                               ;   in Loop: Header=BB4_9 Depth=1
	s_or_b64 exec, exec, s[4:5]
	v_lshlrev_b32_e32 v4, 3, v6
	ds_read_b64 v[4:5], v4
	s_waitcnt lgkmcnt(1)
	v_add_u32_e32 v15, -1, v7
	v_mov_b32_e32 v16, v6
.LBB4_19:                               ;   in Loop: Header=BB4_9 Depth=1
	s_or_b64 exec, exec, s[2:3]
	v_add_u32_e32 v6, 1, v14
	v_cmp_eq_u32_e32 vcc, v6, v15
	s_waitcnt lgkmcnt(0)
	v_mov_b32_e32 v7, v5
	v_mov_b32_e32 v6, v4
	s_and_saveexec_b64 s[2:3], vcc
	s_cbranch_execz .LBB4_25
; %bb.20:                               ;   in Loop: Header=BB4_9 Depth=1
	v_add_u32_e32 v8, 1, v16
	v_cmp_ne_u32_e32 vcc, s7, v8
                                        ; implicit-def: $vgpr9
	s_and_saveexec_b64 s[4:5], vcc
	s_xor_b64 s[4:5], exec, s[4:5]
; %bb.21:                               ;   in Loop: Header=BB4_9 Depth=1
	v_lshlrev_b32_e32 v6, 2, v16
	ds_read_b32 v9, v6 offset:18440
; %bb.22:                               ;   in Loop: Header=BB4_9 Depth=1
	s_andn2_saveexec_b64 s[4:5], s[4:5]
	s_cbranch_execz .LBB4_24
; %bb.23:                               ;   in Loop: Header=BB4_9 Depth=1
	s_waitcnt lgkmcnt(0)
	v_add_u32_e32 v9, 8, v14
.LBB4_24:                               ;   in Loop: Header=BB4_9 Depth=1
	s_or_b64 exec, exec, s[4:5]
	v_lshlrev_b32_e32 v6, 3, v16
	ds_read_b64 v[6:7], v6 offset:8
	s_waitcnt lgkmcnt(1)
	v_add_u32_e32 v15, -1, v9
	v_mov_b32_e32 v16, v8
.LBB4_25:                               ;   in Loop: Header=BB4_9 Depth=1
	s_or_b64 exec, exec, s[2:3]
	v_add_u32_e32 v8, 2, v14
	v_cmp_eq_u32_e32 vcc, v8, v15
	s_waitcnt lgkmcnt(0)
	v_mov_b32_e32 v9, v7
	v_mov_b32_e32 v8, v6
	s_and_saveexec_b64 s[2:3], vcc
	s_cbranch_execz .LBB4_31
; %bb.26:                               ;   in Loop: Header=BB4_9 Depth=1
	v_add_u32_e32 v10, 1, v16
	v_cmp_ne_u32_e32 vcc, s7, v10
                                        ; implicit-def: $vgpr11
	s_and_saveexec_b64 s[4:5], vcc
	s_xor_b64 s[4:5], exec, s[4:5]
; %bb.27:                               ;   in Loop: Header=BB4_9 Depth=1
	v_lshlrev_b32_e32 v8, 2, v16
	ds_read_b32 v11, v8 offset:18440
; %bb.28:                               ;   in Loop: Header=BB4_9 Depth=1
	s_andn2_saveexec_b64 s[4:5], s[4:5]
	s_cbranch_execz .LBB4_30
; %bb.29:                               ;   in Loop: Header=BB4_9 Depth=1
	s_waitcnt lgkmcnt(0)
	v_add_u32_e32 v11, 9, v14
.LBB4_30:                               ;   in Loop: Header=BB4_9 Depth=1
	s_or_b64 exec, exec, s[4:5]
	v_lshlrev_b32_e32 v8, 3, v16
	ds_read_b64 v[8:9], v8 offset:8
	s_waitcnt lgkmcnt(1)
	v_add_u32_e32 v15, -1, v11
	v_mov_b32_e32 v16, v10
.LBB4_31:                               ;   in Loop: Header=BB4_9 Depth=1
	s_or_b64 exec, exec, s[2:3]
	v_add_u32_e32 v10, 3, v14
	v_cmp_eq_u32_e32 vcc, v10, v15
	s_waitcnt lgkmcnt(0)
	v_mov_b32_e32 v11, v9
	v_mov_b32_e32 v10, v8
	s_and_saveexec_b64 s[2:3], vcc
	s_cbranch_execz .LBB4_37
; %bb.32:                               ;   in Loop: Header=BB4_9 Depth=1
	v_add_u32_e32 v12, 1, v16
	v_cmp_ne_u32_e32 vcc, s7, v12
                                        ; implicit-def: $vgpr13
	s_and_saveexec_b64 s[4:5], vcc
	s_xor_b64 s[4:5], exec, s[4:5]
; %bb.33:                               ;   in Loop: Header=BB4_9 Depth=1
	v_lshlrev_b32_e32 v10, 2, v16
	ds_read_b32 v13, v10 offset:18440
; %bb.34:                               ;   in Loop: Header=BB4_9 Depth=1
	s_andn2_saveexec_b64 s[4:5], s[4:5]
	s_cbranch_execz .LBB4_36
; %bb.35:                               ;   in Loop: Header=BB4_9 Depth=1
	s_waitcnt lgkmcnt(0)
	v_add_u32_e32 v13, 10, v14
.LBB4_36:                               ;   in Loop: Header=BB4_9 Depth=1
	s_or_b64 exec, exec, s[4:5]
	v_lshlrev_b32_e32 v10, 3, v16
	ds_read_b64 v[10:11], v10 offset:8
	s_waitcnt lgkmcnt(1)
	v_add_u32_e32 v15, -1, v13
	v_mov_b32_e32 v16, v12
.LBB4_37:                               ;   in Loop: Header=BB4_9 Depth=1
	s_or_b64 exec, exec, s[2:3]
	v_add_u32_e32 v12, 4, v14
	v_cmp_eq_u32_e32 vcc, v12, v15
	s_waitcnt lgkmcnt(0)
	v_mov_b32_e32 v13, v11
	v_mov_b32_e32 v12, v10
	s_and_saveexec_b64 s[2:3], vcc
	s_cbranch_execz .LBB4_43
; %bb.38:                               ;   in Loop: Header=BB4_9 Depth=1
	v_add_u32_e32 v17, 1, v16
	v_cmp_ne_u32_e32 vcc, s7, v17
                                        ; implicit-def: $vgpr15
	s_and_saveexec_b64 s[4:5], vcc
	s_xor_b64 s[4:5], exec, s[4:5]
; %bb.39:                               ;   in Loop: Header=BB4_9 Depth=1
	v_lshlrev_b32_e32 v12, 2, v16
	ds_read_b32 v15, v12 offset:18440
; %bb.40:                               ;   in Loop: Header=BB4_9 Depth=1
	s_andn2_saveexec_b64 s[4:5], s[4:5]
	s_cbranch_execz .LBB4_42
; %bb.41:                               ;   in Loop: Header=BB4_9 Depth=1
	s_waitcnt lgkmcnt(0)
	v_add_u32_e32 v15, 11, v14
.LBB4_42:                               ;   in Loop: Header=BB4_9 Depth=1
	s_or_b64 exec, exec, s[4:5]
	v_lshlrev_b32_e32 v12, 3, v16
	ds_read_b64 v[12:13], v12 offset:8
	s_waitcnt lgkmcnt(1)
	v_add_u32_e32 v15, -1, v15
	v_mov_b32_e32 v16, v17
.LBB4_43:                               ;   in Loop: Header=BB4_9 Depth=1
	s_or_b64 exec, exec, s[2:3]
	v_add_u32_e32 v14, 5, v14
	v_cmp_eq_u32_e32 vcc, v14, v15
	s_waitcnt lgkmcnt(0)
	v_mov_b32_e32 v15, v13
	v_mov_b32_e32 v14, v12
	s_and_saveexec_b64 s[2:3], vcc
; %bb.44:                               ;   in Loop: Header=BB4_9 Depth=1
	v_lshlrev_b32_e32 v14, 3, v16
	ds_read_b64 v[14:15], v14 offset:8
; %bb.45:                               ;   in Loop: Header=BB4_9 Depth=1
	s_or_b64 exec, exec, s[2:3]
	s_lshl_b64 s[2:3], s[0:1], 3
	v_mov_b32_e32 v17, s3
	v_add_co_u32_e32 v16, vcc, s2, v19
	s_min_u32 s4, s8, 0x700
	v_addc_co_u32_e32 v17, vcc, v20, v17, vcc
	v_cmp_gt_u32_e32 vcc, s4, v1
	s_and_saveexec_b64 s[2:3], vcc
	s_cbranch_execnz .LBB4_52
; %bb.46:                               ;   in Loop: Header=BB4_9 Depth=1
	s_or_b64 exec, exec, s[2:3]
	v_cmp_gt_u32_e32 vcc, s4, v21
	s_and_saveexec_b64 s[2:3], vcc
	s_cbranch_execnz .LBB4_53
.LBB4_47:                               ;   in Loop: Header=BB4_9 Depth=1
	s_or_b64 exec, exec, s[2:3]
	v_cmp_gt_u32_e32 vcc, s4, v22
	s_and_saveexec_b64 s[2:3], vcc
	s_cbranch_execnz .LBB4_54
.LBB4_48:                               ;   in Loop: Header=BB4_9 Depth=1
	s_or_b64 exec, exec, s[2:3]
	v_cmp_gt_u32_e32 vcc, s4, v23
	s_and_saveexec_b64 s[2:3], vcc
	s_cbranch_execnz .LBB4_55
.LBB4_49:                               ;   in Loop: Header=BB4_9 Depth=1
	s_or_b64 exec, exec, s[2:3]
	v_cmp_gt_u32_e32 vcc, s4, v24
	s_and_saveexec_b64 s[2:3], vcc
	s_cbranch_execnz .LBB4_56
.LBB4_50:                               ;   in Loop: Header=BB4_9 Depth=1
	s_or_b64 exec, exec, s[2:3]
	v_cmp_gt_u32_e32 vcc, s4, v25
	s_and_saveexec_b64 s[2:3], vcc
	s_cbranch_execnz .LBB4_57
.LBB4_51:                               ;   in Loop: Header=BB4_9 Depth=1
	s_or_b64 exec, exec, s[2:3]
	v_cmp_gt_u32_e32 vcc, s4, v26
	s_and_saveexec_b64 s[2:3], vcc
	s_cbranch_execz .LBB4_8
	s_branch .LBB4_58
.LBB4_52:                               ;   in Loop: Header=BB4_9 Depth=1
	global_store_dwordx2 v[16:17], v[2:3], off
	s_or_b64 exec, exec, s[2:3]
	v_cmp_gt_u32_e32 vcc, s4, v21
	s_and_saveexec_b64 s[2:3], vcc
	s_cbranch_execz .LBB4_47
.LBB4_53:                               ;   in Loop: Header=BB4_9 Depth=1
	global_store_dwordx2 v[16:17], v[4:5], off offset:8
	s_or_b64 exec, exec, s[2:3]
	v_cmp_gt_u32_e32 vcc, s4, v22
	s_and_saveexec_b64 s[2:3], vcc
	s_cbranch_execz .LBB4_48
.LBB4_54:                               ;   in Loop: Header=BB4_9 Depth=1
	global_store_dwordx2 v[16:17], v[6:7], off offset:16
	s_or_b64 exec, exec, s[2:3]
	v_cmp_gt_u32_e32 vcc, s4, v23
	s_and_saveexec_b64 s[2:3], vcc
	s_cbranch_execz .LBB4_49
.LBB4_55:                               ;   in Loop: Header=BB4_9 Depth=1
	global_store_dwordx2 v[16:17], v[8:9], off offset:24
	s_or_b64 exec, exec, s[2:3]
	v_cmp_gt_u32_e32 vcc, s4, v24
	s_and_saveexec_b64 s[2:3], vcc
	s_cbranch_execz .LBB4_50
.LBB4_56:                               ;   in Loop: Header=BB4_9 Depth=1
	global_store_dwordx2 v[16:17], v[10:11], off offset:32
	s_or_b64 exec, exec, s[2:3]
	v_cmp_gt_u32_e32 vcc, s4, v25
	s_and_saveexec_b64 s[2:3], vcc
	s_cbranch_execz .LBB4_51
.LBB4_57:                               ;   in Loop: Header=BB4_9 Depth=1
	global_store_dwordx2 v[16:17], v[12:13], off offset:40
	s_or_b64 exec, exec, s[2:3]
	v_cmp_gt_u32_e32 vcc, s4, v26
	s_and_saveexec_b64 s[2:3], vcc
	s_cbranch_execz .LBB4_8
.LBB4_58:                               ;   in Loop: Header=BB4_9 Depth=1
	s_waitcnt lgkmcnt(0)
	global_store_dwordx2 v[16:17], v[14:15], off offset:48
	s_branch .LBB4_8
.LBB4_59:
	s_endpgm
	.section	.rodata,"a",@progbits
	.p2align	6, 0x0
	.amdhsa_kernel _Z30block_run_length_decode_kernelIdcLj256ELj9ELj7EEvPKT_PKT0_PS0_
		.amdhsa_group_segment_fixed_size 27648
		.amdhsa_private_segment_fixed_size 0
		.amdhsa_kernarg_size 24
		.amdhsa_user_sgpr_count 6
		.amdhsa_user_sgpr_private_segment_buffer 1
		.amdhsa_user_sgpr_dispatch_ptr 0
		.amdhsa_user_sgpr_queue_ptr 0
		.amdhsa_user_sgpr_kernarg_segment_ptr 1
		.amdhsa_user_sgpr_dispatch_id 0
		.amdhsa_user_sgpr_flat_scratch_init 0
		.amdhsa_user_sgpr_private_segment_size 0
		.amdhsa_uses_dynamic_stack 0
		.amdhsa_system_sgpr_private_segment_wavefront_offset 0
		.amdhsa_system_sgpr_workgroup_id_x 1
		.amdhsa_system_sgpr_workgroup_id_y 0
		.amdhsa_system_sgpr_workgroup_id_z 0
		.amdhsa_system_sgpr_workgroup_info 0
		.amdhsa_system_vgpr_workitem_id 0
		.amdhsa_next_free_vgpr 85
		.amdhsa_next_free_sgpr 98
		.amdhsa_reserve_vcc 1
		.amdhsa_reserve_flat_scratch 0
		.amdhsa_float_round_mode_32 0
		.amdhsa_float_round_mode_16_64 0
		.amdhsa_float_denorm_mode_32 3
		.amdhsa_float_denorm_mode_16_64 3
		.amdhsa_dx10_clamp 1
		.amdhsa_ieee_mode 1
		.amdhsa_fp16_overflow 0
		.amdhsa_exception_fp_ieee_invalid_op 0
		.amdhsa_exception_fp_denorm_src 0
		.amdhsa_exception_fp_ieee_div_zero 0
		.amdhsa_exception_fp_ieee_overflow 0
		.amdhsa_exception_fp_ieee_underflow 0
		.amdhsa_exception_fp_ieee_inexact 0
		.amdhsa_exception_int_div_zero 0
	.end_amdhsa_kernel
	.section	.text._Z30block_run_length_decode_kernelIdcLj256ELj9ELj7EEvPKT_PKT0_PS0_,"axG",@progbits,_Z30block_run_length_decode_kernelIdcLj256ELj9ELj7EEvPKT_PKT0_PS0_,comdat
.Lfunc_end4:
	.size	_Z30block_run_length_decode_kernelIdcLj256ELj9ELj7EEvPKT_PKT0_PS0_, .Lfunc_end4-_Z30block_run_length_decode_kernelIdcLj256ELj9ELj7EEvPKT_PKT0_PS0_
                                        ; -- End function
	.set _Z30block_run_length_decode_kernelIdcLj256ELj9ELj7EEvPKT_PKT0_PS0_.num_vgpr, 35
	.set _Z30block_run_length_decode_kernelIdcLj256ELj9ELj7EEvPKT_PKT0_PS0_.num_agpr, 0
	.set _Z30block_run_length_decode_kernelIdcLj256ELj9ELj7EEvPKT_PKT0_PS0_.numbered_sgpr, 9
	.set _Z30block_run_length_decode_kernelIdcLj256ELj9ELj7EEvPKT_PKT0_PS0_.num_named_barrier, 0
	.set _Z30block_run_length_decode_kernelIdcLj256ELj9ELj7EEvPKT_PKT0_PS0_.private_seg_size, 0
	.set _Z30block_run_length_decode_kernelIdcLj256ELj9ELj7EEvPKT_PKT0_PS0_.uses_vcc, 1
	.set _Z30block_run_length_decode_kernelIdcLj256ELj9ELj7EEvPKT_PKT0_PS0_.uses_flat_scratch, 0
	.set _Z30block_run_length_decode_kernelIdcLj256ELj9ELj7EEvPKT_PKT0_PS0_.has_dyn_sized_stack, 0
	.set _Z30block_run_length_decode_kernelIdcLj256ELj9ELj7EEvPKT_PKT0_PS0_.has_recursion, 0
	.set _Z30block_run_length_decode_kernelIdcLj256ELj9ELj7EEvPKT_PKT0_PS0_.has_indirect_call, 0
	.section	.AMDGPU.csdata,"",@progbits
; Kernel info:
; codeLenInByte = 2788
; TotalNumSgprs: 13
; NumVgprs: 35
; ScratchSize: 0
; MemoryBound: 0
; FloatMode: 240
; IeeeMode: 1
; LDSByteSize: 27648 bytes/workgroup (compile time only)
; SGPRBlocks: 12
; VGPRBlocks: 21
; NumSGPRsForWavesPerEU: 102
; NumVGPRsForWavesPerEU: 85
; Occupancy: 2
; WaveLimiterHint : 0
; COMPUTE_PGM_RSRC2:SCRATCH_EN: 0
; COMPUTE_PGM_RSRC2:USER_SGPR: 6
; COMPUTE_PGM_RSRC2:TRAP_HANDLER: 0
; COMPUTE_PGM_RSRC2:TGID_X_EN: 1
; COMPUTE_PGM_RSRC2:TGID_Y_EN: 0
; COMPUTE_PGM_RSRC2:TGID_Z_EN: 0
; COMPUTE_PGM_RSRC2:TIDIG_COMP_CNT: 0
	.section	.text._Z30block_run_length_decode_kernelIiiLj256ELj9ELj7EEvPKT_PKT0_PS0_,"axG",@progbits,_Z30block_run_length_decode_kernelIiiLj256ELj9ELj7EEvPKT_PKT0_PS0_,comdat
	.protected	_Z30block_run_length_decode_kernelIiiLj256ELj9ELj7EEvPKT_PKT0_PS0_ ; -- Begin function _Z30block_run_length_decode_kernelIiiLj256ELj9ELj7EEvPKT_PKT0_PS0_
	.globl	_Z30block_run_length_decode_kernelIiiLj256ELj9ELj7EEvPKT_PKT0_PS0_
	.p2align	8
	.type	_Z30block_run_length_decode_kernelIiiLj256ELj9ELj7EEvPKT_PKT0_PS0_,@function
_Z30block_run_length_decode_kernelIiiLj256ELj9ELj7EEvPKT_PKT0_PS0_: ; @_Z30block_run_length_decode_kernelIiiLj256ELj9ELj7EEvPKT_PKT0_PS0_
; %bb.0:
	s_load_dwordx4 s[0:3], s[4:5], 0x0
	v_lshl_or_b32 v17, s6, 8, v0
	v_lshl_add_u32 v1, v17, 3, v17
	v_mov_b32_e32 v2, 0
	v_lshlrev_b64 v[1:2], 2, v[1:2]
	s_waitcnt lgkmcnt(0)
	v_mov_b32_e32 v4, s3
	v_add_co_u32_e32 v3, vcc, s2, v1
	v_addc_co_u32_e32 v4, vcc, v4, v2, vcc
	global_load_dwordx4 v[13:16], v[3:4], off
	global_load_dwordx4 v[9:12], v[3:4], off offset:16
	global_load_dword v21, v[3:4], off offset:32
	v_mov_b32_e32 v3, s1
	v_add_co_u32_e32 v19, vcc, s0, v1
	v_addc_co_u32_e32 v20, vcc, v3, v2, vcc
	global_load_dword v18, v[19:20], off offset:32
	global_load_dwordx4 v[1:4], v[19:20], off offset:16
	global_load_dwordx4 v[5:8], v[19:20], off
	v_mbcnt_lo_u32_b32 v19, -1, 0
	v_mbcnt_hi_u32_b32 v19, -1, v19
	v_and_b32_e32 v23, 15, v19
	v_cmp_ne_u32_e32 vcc, 0, v23
	v_bfe_i32 v24, v19, 4, 1
	v_or_b32_e32 v22, 63, v0
	v_lshrrev_b32_e32 v20, 6, v0
	s_waitcnt vmcnt(5)
	v_add3_u32 v25, v14, v13, v15
	s_waitcnt vmcnt(4)
	v_add3_u32 v25, v25, v16, v9
	v_add3_u32 v25, v25, v10, v11
	s_waitcnt vmcnt(3)
	v_add3_u32 v21, v25, v12, v21
	s_nop 1
	v_mov_b32_dpp v25, v21 row_shr:1 row_mask:0xf bank_mask:0xf
	v_cndmask_b32_e32 v25, 0, v25, vcc
	v_add_u32_e32 v21, v25, v21
	v_cmp_lt_u32_e32 vcc, 1, v23
	s_nop 0
	v_mov_b32_dpp v25, v21 row_shr:2 row_mask:0xf bank_mask:0xf
	v_cndmask_b32_e32 v25, 0, v25, vcc
	v_add_u32_e32 v21, v21, v25
	v_cmp_lt_u32_e32 vcc, 3, v23
	;; [unrolled: 5-line block ×4, first 2 shown]
	s_nop 0
	v_mov_b32_dpp v23, v21 row_bcast:15 row_mask:0xf bank_mask:0xf
	v_and_b32_e32 v23, v24, v23
	v_add_u32_e32 v21, v21, v23
	s_nop 1
	v_mov_b32_dpp v23, v21 row_bcast:31 row_mask:0xf bank_mask:0xf
	v_cndmask_b32_e32 v23, 0, v23, vcc
	v_add_u32_e32 v21, v21, v23
	v_cmp_eq_u32_e32 vcc, v0, v22
	s_and_saveexec_b64 s[0:1], vcc
; %bb.1:
	v_lshlrev_b32_e32 v22, 2, v20
	ds_write_b32 v22, v21
; %bb.2:
	s_or_b64 exec, exec, s[0:1]
	v_cmp_gt_u32_e32 vcc, 4, v0
	s_waitcnt vmcnt(0) lgkmcnt(0)
	s_barrier
	s_and_saveexec_b64 s[0:1], vcc
	s_cbranch_execz .LBB5_4
; %bb.3:
	v_lshlrev_b32_e32 v22, 2, v0
	ds_read_b32 v23, v22
	v_and_b32_e32 v24, 3, v19
	v_cmp_ne_u32_e32 vcc, 0, v24
	s_waitcnt lgkmcnt(0)
	v_mov_b32_dpp v25, v23 row_shr:1 row_mask:0xf bank_mask:0xf
	v_cndmask_b32_e32 v25, 0, v25, vcc
	v_add_u32_e32 v23, v25, v23
	v_cmp_lt_u32_e32 vcc, 1, v24
	s_nop 0
	v_mov_b32_dpp v25, v23 row_shr:2 row_mask:0xf bank_mask:0xf
	v_cndmask_b32_e32 v24, 0, v25, vcc
	v_add_u32_e32 v23, v23, v24
	ds_write_b32 v22, v23
.LBB5_4:
	s_or_b64 exec, exec, s[0:1]
	v_cmp_lt_u32_e32 vcc, 63, v0
	v_mov_b32_e32 v22, 0
	v_mov_b32_e32 v23, 0
	s_waitcnt lgkmcnt(0)
	s_barrier
	s_and_saveexec_b64 s[0:1], vcc
; %bb.5:
	v_lshl_add_u32 v20, v20, 2, -4
	ds_read_b32 v23, v20
; %bb.6:
	s_or_b64 exec, exec, s[0:1]
	s_waitcnt lgkmcnt(0)
	v_add_u32_e32 v20, v23, v21
	v_subrev_co_u32_e32 v21, vcc, 1, v19
	v_and_b32_e32 v24, 64, v19
	v_cmp_lt_i32_e64 s[0:1], v21, v24
	v_cndmask_b32_e64 v19, v21, v19, s[0:1]
	v_lshlrev_b32_e32 v19, 2, v19
	ds_bpermute_b32 v19, v19, v20
	ds_read_b32 v20, v22 offset:12
	v_mul_u32_u24_e32 v21, 9, v0
	v_lshlrev_b32_e32 v21, 2, v21
	s_waitcnt lgkmcnt(0)
	v_cndmask_b32_e32 v19, v19, v23, vcc
	v_cmp_ne_u32_e32 vcc, 0, v0
	v_cndmask_b32_e32 v19, 0, v19, vcc
	v_add_u32_e32 v13, v19, v13
	v_add_u32_e32 v14, v13, v14
	;; [unrolled: 1-line block ×6, first 2 shown]
	s_barrier
	v_add_u32_e32 v22, 0x2400, v21
	ds_write2_b32 v21, v5, v6 offset1:1
	ds_write2_b32 v22, v19, v13 offset1:1
	v_add_u32_e32 v5, 0x2408, v21
	v_add_u32_e32 v11, v10, v11
	ds_write2_b32 v21, v7, v8 offset0:2 offset1:3
	ds_write2_b32 v5, v14, v15 offset1:1
	v_add_u32_e32 v5, 0x2410, v21
	ds_write2_b32 v21, v1, v2 offset0:4 offset1:5
	ds_write2_b32 v5, v16, v9 offset1:1
	v_add_u32_e32 v1, 0x2418, v21
	v_cmp_eq_u32_e32 vcc, 0, v20
	s_mov_b32 s1, 0
	v_add_u32_e32 v12, v11, v12
	v_readfirstlane_b32 s6, v20
	ds_write2_b32 v21, v3, v4 offset0:6 offset1:7
	ds_write2_b32 v1, v10, v11 offset1:1
	v_add_u32_e32 v1, 32, v21
	ds_write2st64_b32 v1, v18, v12 offset1:36
	s_waitcnt lgkmcnt(0)
	s_barrier
	s_cbranch_vccnz .LBB5_59
; %bb.7:
	v_mul_lo_u32 v1, v17, 7
	s_load_dwordx2 s[2:3], s[4:5], 0x10
	v_mov_b32_e32 v2, 0
	ds_read_b32 v12, v2 offset:13824
	v_lshlrev_b64 v[4:5], 2, v[1:2]
	v_mul_u32_u24_e32 v0, 7, v0
	s_waitcnt lgkmcnt(0)
	v_mov_b32_e32 v3, s3
	v_add_co_u32_e32 v4, vcc, s2, v4
	v_addc_co_u32_e32 v5, vcc, v3, v5, vcc
	v_add_u32_e32 v6, 1, v1
	v_add_u32_e32 v7, 2, v1
	;; [unrolled: 1-line block ×6, first 2 shown]
	v_mov_b32_e32 v13, 0x481
	v_mov_b32_e32 v14, 0x900
	;; [unrolled: 1-line block ×5, first 2 shown]
	s_movk_i32 s7, 0x8ff
	s_mov_b32 s8, s6
	s_mov_b32 s0, s1
	s_branch .LBB5_9
.LBB5_8:                                ;   in Loop: Header=BB5_9 Depth=1
	s_or_b64 exec, exec, s[2:3]
	s_addk_i32 s0, 0x700
	s_addk_i32 s8, 0xf900
	s_cmp_lt_u32 s0, s6
	s_cbranch_scc0 .LBB5_59
.LBB5_9:                                ; =>This Inner Loop Header: Depth=1
	v_add_u32_e32 v2, s0, v0
	v_cmp_lt_u32_e32 vcc, v2, v12
	v_cndmask_b32_e32 v18, v16, v17, vcc
	v_lshlrev_b32_e32 v19, 2, v18
	ds_read_b32 v19, v19 offset:9216
	v_cndmask_b32_e64 v3, v13, 0, vcc
	v_cndmask_b32_e32 v20, v14, v15, vcc
	v_or_b32_e32 v21, 1, v18
	s_waitcnt lgkmcnt(0)
	v_cmp_lt_u32_e32 vcc, v2, v19
	v_cndmask_b32_e32 v3, v21, v3, vcc
	v_cndmask_b32_e32 v18, v20, v18, vcc
	v_sub_u32_e32 v19, v18, v3
	v_lshrrev_b16_e32 v20, 15, v19
	v_add_u16_e32 v19, v19, v20
	v_ashrrev_i16_e32 v19, 1, v19
	v_add_u32_sdwa v19, v3, sext(v19) dst_sel:DWORD dst_unused:UNUSED_PAD src0_sel:DWORD src1_sel:WORD_0
	v_min_i32_e32 v19, 0x8ff, v19
	v_lshlrev_b32_e32 v20, 2, v19
	ds_read_b32 v20, v20 offset:9216
	v_add_u32_e32 v21, 1, v19
	s_waitcnt lgkmcnt(0)
	v_cmp_lt_u32_e32 vcc, v2, v20
	v_cndmask_b32_e32 v3, v21, v3, vcc
	v_cndmask_b32_e32 v18, v18, v19, vcc
	v_sub_u32_e32 v19, v18, v3
	v_lshrrev_b16_e32 v20, 15, v19
	v_add_u16_e32 v19, v19, v20
	v_ashrrev_i16_e32 v19, 1, v19
	v_add_u32_sdwa v19, v3, sext(v19) dst_sel:DWORD dst_unused:UNUSED_PAD src0_sel:DWORD src1_sel:WORD_0
	v_min_i32_e32 v19, 0x8ff, v19
	v_lshlrev_b32_e32 v20, 2, v19
	ds_read_b32 v20, v20 offset:9216
	v_add_u32_e32 v21, 1, v19
	;; [unrolled: 13-line block ×7, first 2 shown]
	s_waitcnt lgkmcnt(0)
	v_cmp_lt_u32_e32 vcc, v2, v20
	v_cndmask_b32_e32 v3, v21, v3, vcc
	v_cndmask_b32_e32 v18, v18, v19, vcc
	v_sub_u32_e32 v19, v18, v3
	v_lshrrev_b32_e32 v20, 31, v19
	v_add_u32_e32 v19, v19, v20
	v_ashrrev_i32_e32 v19, 1, v19
	v_add_u32_e32 v19, v19, v3
	v_min_i32_e32 v19, 0x8ff, v19
	v_lshlrev_b32_e32 v20, 2, v19
	ds_read_b32 v20, v20 offset:9216
	v_add_u32_e32 v21, 1, v19
	s_waitcnt lgkmcnt(0)
	v_cmp_lt_u32_e32 vcc, v2, v20
	v_cndmask_b32_e32 v3, v21, v3, vcc
	v_cndmask_b32_e32 v18, v18, v19, vcc
	v_sub_u32_e32 v19, v18, v3
	v_lshrrev_b32_e32 v20, 31, v19
	v_add_u32_e32 v19, v19, v20
	v_ashrrev_i32_e32 v19, 1, v19
	v_add_u32_e32 v19, v19, v3
	v_min_i32_e32 v19, 0x8ff, v19
	v_lshlrev_b32_e32 v20, 2, v19
	ds_read_b32 v20, v20 offset:9216
	v_add_u32_e32 v21, 1, v19
	;; [unrolled: 13-line block ×4, first 2 shown]
	s_waitcnt lgkmcnt(0)
	v_cmp_lt_u32_e32 vcc, v2, v19
	v_cndmask_b32_e32 v20, v18, v3, vcc
	v_add_u32_e32 v3, -1, v20
	v_cmp_ne_u32_e32 vcc, s7, v3
                                        ; implicit-def: $vgpr19
	s_and_saveexec_b64 s[2:3], vcc
	s_xor_b64 s[2:3], exec, s[2:3]
; %bb.10:                               ;   in Loop: Header=BB5_9 Depth=1
	v_lshlrev_b32_e32 v18, 2, v20
	ds_read_b32 v19, v18 offset:9216
; %bb.11:                               ;   in Loop: Header=BB5_9 Depth=1
	s_andn2_saveexec_b64 s[2:3], s[2:3]
	s_cbranch_execz .LBB5_13
; %bb.12:                               ;   in Loop: Header=BB5_9 Depth=1
	s_waitcnt lgkmcnt(0)
	v_add_u32_e32 v19, 7, v2
.LBB5_13:                               ;   in Loop: Header=BB5_9 Depth=1
	s_or_b64 exec, exec, s[2:3]
	v_lshlrev_b32_e32 v18, 2, v3
	ds_read_b32 v18, v18
	s_waitcnt lgkmcnt(1)
	v_add_u32_e32 v23, -1, v19
	v_cmp_eq_u32_e32 vcc, v2, v23
	s_waitcnt lgkmcnt(0)
	v_mov_b32_e32 v19, v18
	s_and_saveexec_b64 s[2:3], vcc
	s_cbranch_execz .LBB5_19
; %bb.14:                               ;   in Loop: Header=BB5_9 Depth=1
	v_cmp_ne_u32_e32 vcc, s7, v20
	v_lshlrev_b32_e32 v3, 2, v20
                                        ; implicit-def: $vgpr21
	s_and_saveexec_b64 s[4:5], vcc
	s_xor_b64 s[4:5], exec, s[4:5]
; %bb.15:                               ;   in Loop: Header=BB5_9 Depth=1
	ds_read_b32 v21, v3 offset:9220
; %bb.16:                               ;   in Loop: Header=BB5_9 Depth=1
	s_andn2_saveexec_b64 s[4:5], s[4:5]
	s_cbranch_execz .LBB5_18
; %bb.17:                               ;   in Loop: Header=BB5_9 Depth=1
	s_waitcnt lgkmcnt(0)
	v_add_u32_e32 v21, 7, v2
.LBB5_18:                               ;   in Loop: Header=BB5_9 Depth=1
	s_or_b64 exec, exec, s[4:5]
	ds_read_b32 v19, v3
	s_waitcnt lgkmcnt(1)
	v_add_u32_e32 v23, -1, v21
	v_mov_b32_e32 v3, v20
.LBB5_19:                               ;   in Loop: Header=BB5_9 Depth=1
	s_or_b64 exec, exec, s[2:3]
	v_add_u32_e32 v20, 1, v2
	v_cmp_eq_u32_e32 vcc, v20, v23
	s_waitcnt lgkmcnt(0)
	v_mov_b32_e32 v20, v19
	s_and_saveexec_b64 s[2:3], vcc
	s_cbranch_execz .LBB5_25
; %bb.20:                               ;   in Loop: Header=BB5_9 Depth=1
	v_add_u32_e32 v21, 1, v3
	v_cmp_ne_u32_e32 vcc, s7, v21
	v_lshlrev_b32_e32 v3, 2, v3
                                        ; implicit-def: $vgpr22
	s_and_saveexec_b64 s[4:5], vcc
	s_xor_b64 s[4:5], exec, s[4:5]
; %bb.21:                               ;   in Loop: Header=BB5_9 Depth=1
	ds_read_b32 v22, v3 offset:9224
; %bb.22:                               ;   in Loop: Header=BB5_9 Depth=1
	s_andn2_saveexec_b64 s[4:5], s[4:5]
	s_cbranch_execz .LBB5_24
; %bb.23:                               ;   in Loop: Header=BB5_9 Depth=1
	s_waitcnt lgkmcnt(0)
	v_add_u32_e32 v22, 8, v2
.LBB5_24:                               ;   in Loop: Header=BB5_9 Depth=1
	s_or_b64 exec, exec, s[4:5]
	ds_read_b32 v20, v3 offset:4
	s_waitcnt lgkmcnt(1)
	v_add_u32_e32 v23, -1, v22
	v_mov_b32_e32 v3, v21
.LBB5_25:                               ;   in Loop: Header=BB5_9 Depth=1
	s_or_b64 exec, exec, s[2:3]
	v_add_u32_e32 v21, 2, v2
	v_cmp_eq_u32_e32 vcc, v21, v23
	s_waitcnt lgkmcnt(0)
	v_mov_b32_e32 v21, v20
	s_and_saveexec_b64 s[2:3], vcc
	s_cbranch_execz .LBB5_31
; %bb.26:                               ;   in Loop: Header=BB5_9 Depth=1
	v_add_u32_e32 v22, 1, v3
	v_cmp_ne_u32_e32 vcc, s7, v22
	v_lshlrev_b32_e32 v3, 2, v3
                                        ; implicit-def: $vgpr23
	s_and_saveexec_b64 s[4:5], vcc
	s_xor_b64 s[4:5], exec, s[4:5]
; %bb.27:                               ;   in Loop: Header=BB5_9 Depth=1
	ds_read_b32 v23, v3 offset:9224
; %bb.28:                               ;   in Loop: Header=BB5_9 Depth=1
	s_andn2_saveexec_b64 s[4:5], s[4:5]
	s_cbranch_execz .LBB5_30
; %bb.29:                               ;   in Loop: Header=BB5_9 Depth=1
	s_waitcnt lgkmcnt(0)
	v_add_u32_e32 v23, 9, v2
.LBB5_30:                               ;   in Loop: Header=BB5_9 Depth=1
	s_or_b64 exec, exec, s[4:5]
	ds_read_b32 v21, v3 offset:4
	s_waitcnt lgkmcnt(1)
	v_add_u32_e32 v23, -1, v23
	v_mov_b32_e32 v3, v22
.LBB5_31:                               ;   in Loop: Header=BB5_9 Depth=1
	s_or_b64 exec, exec, s[2:3]
	v_add_u32_e32 v22, 3, v2
	v_cmp_eq_u32_e32 vcc, v22, v23
	s_waitcnt lgkmcnt(0)
	v_mov_b32_e32 v22, v21
	s_and_saveexec_b64 s[2:3], vcc
	s_cbranch_execz .LBB5_37
; %bb.32:                               ;   in Loop: Header=BB5_9 Depth=1
	v_add_u32_e32 v24, 1, v3
	v_cmp_ne_u32_e32 vcc, s7, v24
	v_lshlrev_b32_e32 v3, 2, v3
                                        ; implicit-def: $vgpr23
	s_and_saveexec_b64 s[4:5], vcc
	s_xor_b64 s[4:5], exec, s[4:5]
; %bb.33:                               ;   in Loop: Header=BB5_9 Depth=1
	ds_read_b32 v23, v3 offset:9224
; %bb.34:                               ;   in Loop: Header=BB5_9 Depth=1
	s_andn2_saveexec_b64 s[4:5], s[4:5]
	s_cbranch_execz .LBB5_36
; %bb.35:                               ;   in Loop: Header=BB5_9 Depth=1
	s_waitcnt lgkmcnt(0)
	v_add_u32_e32 v23, 10, v2
.LBB5_36:                               ;   in Loop: Header=BB5_9 Depth=1
	s_or_b64 exec, exec, s[4:5]
	ds_read_b32 v22, v3 offset:4
	s_waitcnt lgkmcnt(1)
	v_add_u32_e32 v23, -1, v23
	v_mov_b32_e32 v3, v24
.LBB5_37:                               ;   in Loop: Header=BB5_9 Depth=1
	;; [unrolled: 29-line block ×3, first 2 shown]
	s_or_b64 exec, exec, s[2:3]
	v_add_u32_e32 v2, 5, v2
	v_cmp_eq_u32_e32 vcc, v2, v23
	s_waitcnt lgkmcnt(0)
	v_mov_b32_e32 v23, v24
	s_and_saveexec_b64 s[2:3], vcc
; %bb.44:                               ;   in Loop: Header=BB5_9 Depth=1
	v_lshlrev_b32_e32 v2, 2, v3
	ds_read_b32 v23, v2 offset:4
; %bb.45:                               ;   in Loop: Header=BB5_9 Depth=1
	s_or_b64 exec, exec, s[2:3]
	s_lshl_b64 s[2:3], s[0:1], 2
	v_mov_b32_e32 v3, s3
	v_add_co_u32_e32 v2, vcc, s2, v4
	s_min_u32 s4, s8, 0x700
	v_addc_co_u32_e32 v3, vcc, v5, v3, vcc
	v_cmp_gt_u32_e32 vcc, s4, v1
	s_and_saveexec_b64 s[2:3], vcc
	s_cbranch_execnz .LBB5_52
; %bb.46:                               ;   in Loop: Header=BB5_9 Depth=1
	s_or_b64 exec, exec, s[2:3]
	v_cmp_gt_u32_e32 vcc, s4, v6
	s_and_saveexec_b64 s[2:3], vcc
	s_cbranch_execnz .LBB5_53
.LBB5_47:                               ;   in Loop: Header=BB5_9 Depth=1
	s_or_b64 exec, exec, s[2:3]
	v_cmp_gt_u32_e32 vcc, s4, v7
	s_and_saveexec_b64 s[2:3], vcc
	s_cbranch_execnz .LBB5_54
.LBB5_48:                               ;   in Loop: Header=BB5_9 Depth=1
	s_or_b64 exec, exec, s[2:3]
	v_cmp_gt_u32_e32 vcc, s4, v8
	s_and_saveexec_b64 s[2:3], vcc
	s_cbranch_execnz .LBB5_55
.LBB5_49:                               ;   in Loop: Header=BB5_9 Depth=1
	s_or_b64 exec, exec, s[2:3]
	v_cmp_gt_u32_e32 vcc, s4, v9
	s_and_saveexec_b64 s[2:3], vcc
	s_cbranch_execnz .LBB5_56
.LBB5_50:                               ;   in Loop: Header=BB5_9 Depth=1
	s_or_b64 exec, exec, s[2:3]
	v_cmp_gt_u32_e32 vcc, s4, v10
	s_and_saveexec_b64 s[2:3], vcc
	s_cbranch_execnz .LBB5_57
.LBB5_51:                               ;   in Loop: Header=BB5_9 Depth=1
	s_or_b64 exec, exec, s[2:3]
	v_cmp_gt_u32_e32 vcc, s4, v11
	s_and_saveexec_b64 s[2:3], vcc
	s_cbranch_execz .LBB5_8
	s_branch .LBB5_58
.LBB5_52:                               ;   in Loop: Header=BB5_9 Depth=1
	global_store_dword v[2:3], v18, off
	s_or_b64 exec, exec, s[2:3]
	v_cmp_gt_u32_e32 vcc, s4, v6
	s_and_saveexec_b64 s[2:3], vcc
	s_cbranch_execz .LBB5_47
.LBB5_53:                               ;   in Loop: Header=BB5_9 Depth=1
	global_store_dword v[2:3], v19, off offset:4
	s_or_b64 exec, exec, s[2:3]
	v_cmp_gt_u32_e32 vcc, s4, v7
	s_and_saveexec_b64 s[2:3], vcc
	s_cbranch_execz .LBB5_48
.LBB5_54:                               ;   in Loop: Header=BB5_9 Depth=1
	global_store_dword v[2:3], v20, off offset:8
	s_or_b64 exec, exec, s[2:3]
	v_cmp_gt_u32_e32 vcc, s4, v8
	s_and_saveexec_b64 s[2:3], vcc
	s_cbranch_execz .LBB5_49
.LBB5_55:                               ;   in Loop: Header=BB5_9 Depth=1
	global_store_dword v[2:3], v21, off offset:12
	s_or_b64 exec, exec, s[2:3]
	v_cmp_gt_u32_e32 vcc, s4, v9
	s_and_saveexec_b64 s[2:3], vcc
	s_cbranch_execz .LBB5_50
.LBB5_56:                               ;   in Loop: Header=BB5_9 Depth=1
	global_store_dword v[2:3], v22, off offset:16
	s_or_b64 exec, exec, s[2:3]
	v_cmp_gt_u32_e32 vcc, s4, v10
	s_and_saveexec_b64 s[2:3], vcc
	s_cbranch_execz .LBB5_51
.LBB5_57:                               ;   in Loop: Header=BB5_9 Depth=1
	global_store_dword v[2:3], v24, off offset:20
	s_or_b64 exec, exec, s[2:3]
	v_cmp_gt_u32_e32 vcc, s4, v11
	s_and_saveexec_b64 s[2:3], vcc
	s_cbranch_execz .LBB5_8
.LBB5_58:                               ;   in Loop: Header=BB5_9 Depth=1
	s_waitcnt lgkmcnt(0)
	global_store_dword v[2:3], v23, off offset:24
	s_branch .LBB5_8
.LBB5_59:
	s_endpgm
	.section	.rodata,"a",@progbits
	.p2align	6, 0x0
	.amdhsa_kernel _Z30block_run_length_decode_kernelIiiLj256ELj9ELj7EEvPKT_PKT0_PS0_
		.amdhsa_group_segment_fixed_size 18432
		.amdhsa_private_segment_fixed_size 0
		.amdhsa_kernarg_size 24
		.amdhsa_user_sgpr_count 6
		.amdhsa_user_sgpr_private_segment_buffer 1
		.amdhsa_user_sgpr_dispatch_ptr 0
		.amdhsa_user_sgpr_queue_ptr 0
		.amdhsa_user_sgpr_kernarg_segment_ptr 1
		.amdhsa_user_sgpr_dispatch_id 0
		.amdhsa_user_sgpr_flat_scratch_init 0
		.amdhsa_user_sgpr_private_segment_size 0
		.amdhsa_uses_dynamic_stack 0
		.amdhsa_system_sgpr_private_segment_wavefront_offset 0
		.amdhsa_system_sgpr_workgroup_id_x 1
		.amdhsa_system_sgpr_workgroup_id_y 0
		.amdhsa_system_sgpr_workgroup_id_z 0
		.amdhsa_system_sgpr_workgroup_info 0
		.amdhsa_system_vgpr_workitem_id 0
		.amdhsa_next_free_vgpr 65
		.amdhsa_next_free_sgpr 98
		.amdhsa_reserve_vcc 1
		.amdhsa_reserve_flat_scratch 0
		.amdhsa_float_round_mode_32 0
		.amdhsa_float_round_mode_16_64 0
		.amdhsa_float_denorm_mode_32 3
		.amdhsa_float_denorm_mode_16_64 3
		.amdhsa_dx10_clamp 1
		.amdhsa_ieee_mode 1
		.amdhsa_fp16_overflow 0
		.amdhsa_exception_fp_ieee_invalid_op 0
		.amdhsa_exception_fp_denorm_src 0
		.amdhsa_exception_fp_ieee_div_zero 0
		.amdhsa_exception_fp_ieee_overflow 0
		.amdhsa_exception_fp_ieee_underflow 0
		.amdhsa_exception_fp_ieee_inexact 0
		.amdhsa_exception_int_div_zero 0
	.end_amdhsa_kernel
	.section	.text._Z30block_run_length_decode_kernelIiiLj256ELj9ELj7EEvPKT_PKT0_PS0_,"axG",@progbits,_Z30block_run_length_decode_kernelIiiLj256ELj9ELj7EEvPKT_PKT0_PS0_,comdat
.Lfunc_end5:
	.size	_Z30block_run_length_decode_kernelIiiLj256ELj9ELj7EEvPKT_PKT0_PS0_, .Lfunc_end5-_Z30block_run_length_decode_kernelIiiLj256ELj9ELj7EEvPKT_PKT0_PS0_
                                        ; -- End function
	.set _Z30block_run_length_decode_kernelIiiLj256ELj9ELj7EEvPKT_PKT0_PS0_.num_vgpr, 26
	.set _Z30block_run_length_decode_kernelIiiLj256ELj9ELj7EEvPKT_PKT0_PS0_.num_agpr, 0
	.set _Z30block_run_length_decode_kernelIiiLj256ELj9ELj7EEvPKT_PKT0_PS0_.numbered_sgpr, 9
	.set _Z30block_run_length_decode_kernelIiiLj256ELj9ELj7EEvPKT_PKT0_PS0_.num_named_barrier, 0
	.set _Z30block_run_length_decode_kernelIiiLj256ELj9ELj7EEvPKT_PKT0_PS0_.private_seg_size, 0
	.set _Z30block_run_length_decode_kernelIiiLj256ELj9ELj7EEvPKT_PKT0_PS0_.uses_vcc, 1
	.set _Z30block_run_length_decode_kernelIiiLj256ELj9ELj7EEvPKT_PKT0_PS0_.uses_flat_scratch, 0
	.set _Z30block_run_length_decode_kernelIiiLj256ELj9ELj7EEvPKT_PKT0_PS0_.has_dyn_sized_stack, 0
	.set _Z30block_run_length_decode_kernelIiiLj256ELj9ELj7EEvPKT_PKT0_PS0_.has_recursion, 0
	.set _Z30block_run_length_decode_kernelIiiLj256ELj9ELj7EEvPKT_PKT0_PS0_.has_indirect_call, 0
	.section	.AMDGPU.csdata,"",@progbits
; Kernel info:
; codeLenInByte = 2512
; TotalNumSgprs: 13
; NumVgprs: 26
; ScratchSize: 0
; MemoryBound: 0
; FloatMode: 240
; IeeeMode: 1
; LDSByteSize: 18432 bytes/workgroup (compile time only)
; SGPRBlocks: 12
; VGPRBlocks: 16
; NumSGPRsForWavesPerEU: 102
; NumVGPRsForWavesPerEU: 65
; Occupancy: 3
; WaveLimiterHint : 0
; COMPUTE_PGM_RSRC2:SCRATCH_EN: 0
; COMPUTE_PGM_RSRC2:USER_SGPR: 6
; COMPUTE_PGM_RSRC2:TRAP_HANDLER: 0
; COMPUTE_PGM_RSRC2:TGID_X_EN: 1
; COMPUTE_PGM_RSRC2:TGID_Y_EN: 0
; COMPUTE_PGM_RSRC2:TGID_Z_EN: 0
; COMPUTE_PGM_RSRC2:TIDIG_COMP_CNT: 0
	.section	.text._Z30block_run_length_decode_kernelI12hip_bfloat16iLj256ELj1ELj14EEvPKT_PKT0_PS1_,"axG",@progbits,_Z30block_run_length_decode_kernelI12hip_bfloat16iLj256ELj1ELj14EEvPKT_PKT0_PS1_,comdat
	.protected	_Z30block_run_length_decode_kernelI12hip_bfloat16iLj256ELj1ELj14EEvPKT_PKT0_PS1_ ; -- Begin function _Z30block_run_length_decode_kernelI12hip_bfloat16iLj256ELj1ELj14EEvPKT_PKT0_PS1_
	.globl	_Z30block_run_length_decode_kernelI12hip_bfloat16iLj256ELj1ELj14EEvPKT_PKT0_PS1_
	.p2align	8
	.type	_Z30block_run_length_decode_kernelI12hip_bfloat16iLj256ELj1ELj14EEvPKT_PKT0_PS1_,@function
_Z30block_run_length_decode_kernelI12hip_bfloat16iLj256ELj1ELj14EEvPKT_PKT0_PS1_: ; @_Z30block_run_length_decode_kernelI12hip_bfloat16iLj256ELj1ELj14EEvPKT_PKT0_PS1_
; %bb.0:
	s_load_dwordx4 s[0:3], s[4:5], 0x0
	v_lshl_or_b32 v1, s6, 8, v0
	v_mov_b32_e32 v2, 0
	v_lshlrev_b64 v[3:4], 2, v[1:2]
	v_or_b32_e32 v6, 63, v0
	s_waitcnt lgkmcnt(0)
	v_mov_b32_e32 v5, s3
	v_add_co_u32_e32 v3, vcc, s2, v3
	v_addc_co_u32_e32 v4, vcc, v5, v4, vcc
	global_load_dword v5, v[3:4], off
	v_lshlrev_b64 v[2:3], 1, v[1:2]
	v_mov_b32_e32 v4, s1
	v_add_co_u32_e32 v2, vcc, s0, v2
	v_addc_co_u32_e32 v3, vcc, v4, v3, vcc
	global_load_ushort v2, v[2:3], off
	v_mbcnt_lo_u32_b32 v3, -1, 0
	v_mbcnt_hi_u32_b32 v3, -1, v3
	v_and_b32_e32 v7, 15, v3
	v_cmp_ne_u32_e32 vcc, 0, v7
	v_bfe_i32 v8, v3, 4, 1
	v_lshrrev_b32_e32 v4, 6, v0
	s_waitcnt vmcnt(1)
	v_mov_b32_dpp v9, v5 row_shr:1 row_mask:0xf bank_mask:0xf
	v_cndmask_b32_e32 v9, 0, v9, vcc
	v_add_u32_e32 v5, v9, v5
	v_cmp_lt_u32_e32 vcc, 1, v7
	s_nop 0
	v_mov_b32_dpp v9, v5 row_shr:2 row_mask:0xf bank_mask:0xf
	v_cndmask_b32_e32 v9, 0, v9, vcc
	v_add_u32_e32 v5, v5, v9
	v_cmp_lt_u32_e32 vcc, 3, v7
	s_nop 0
	;; [unrolled: 5-line block ×4, first 2 shown]
	v_mov_b32_dpp v7, v5 row_bcast:15 row_mask:0xf bank_mask:0xf
	v_and_b32_e32 v7, v8, v7
	v_add_u32_e32 v5, v5, v7
	s_nop 1
	v_mov_b32_dpp v7, v5 row_bcast:31 row_mask:0xf bank_mask:0xf
	v_cndmask_b32_e32 v7, 0, v7, vcc
	v_add_u32_e32 v5, v5, v7
	v_cmp_eq_u32_e32 vcc, v0, v6
	s_and_saveexec_b64 s[0:1], vcc
; %bb.1:
	v_lshlrev_b32_e32 v6, 2, v4
	ds_write_b32 v6, v5
; %bb.2:
	s_or_b64 exec, exec, s[0:1]
	v_cmp_gt_u32_e32 vcc, 4, v0
	s_waitcnt vmcnt(0) lgkmcnt(0)
	s_barrier
	s_and_saveexec_b64 s[0:1], vcc
	s_cbranch_execz .LBB6_4
; %bb.3:
	v_lshlrev_b32_e32 v6, 2, v0
	ds_read_b32 v7, v6
	v_and_b32_e32 v8, 3, v3
	v_cmp_ne_u32_e32 vcc, 0, v8
	s_waitcnt lgkmcnt(0)
	v_mov_b32_dpp v9, v7 row_shr:1 row_mask:0xf bank_mask:0xf
	v_cndmask_b32_e32 v9, 0, v9, vcc
	v_add_u32_e32 v7, v9, v7
	v_cmp_lt_u32_e32 vcc, 1, v8
	s_nop 0
	v_mov_b32_dpp v9, v7 row_shr:2 row_mask:0xf bank_mask:0xf
	v_cndmask_b32_e32 v8, 0, v9, vcc
	v_add_u32_e32 v7, v7, v8
	ds_write_b32 v6, v7
.LBB6_4:
	s_or_b64 exec, exec, s[0:1]
	v_cmp_lt_u32_e32 vcc, 63, v0
	v_mov_b32_e32 v6, 0
	v_mov_b32_e32 v7, 0
	s_waitcnt lgkmcnt(0)
	s_barrier
	s_and_saveexec_b64 s[0:1], vcc
; %bb.5:
	v_lshl_add_u32 v4, v4, 2, -4
	ds_read_b32 v7, v4
; %bb.6:
	s_or_b64 exec, exec, s[0:1]
	s_waitcnt lgkmcnt(0)
	v_add_u32_e32 v4, v7, v5
	v_subrev_co_u32_e32 v5, vcc, 1, v3
	v_and_b32_e32 v8, 64, v3
	v_cmp_lt_i32_e64 s[0:1], v5, v8
	v_cndmask_b32_e64 v3, v5, v3, s[0:1]
	v_lshlrev_b32_e32 v3, 2, v3
	ds_bpermute_b32 v3, v3, v4
	ds_read_b32 v4, v6 offset:12
	v_lshlrev_b32_e32 v5, 1, v0
	s_waitcnt lgkmcnt(0)
	s_barrier
	v_cndmask_b32_e32 v3, v3, v7, vcc
	v_cmp_eq_u32_e32 vcc, 0, v4
	v_readfirstlane_b32 s6, v4
	ds_write_b16 v5, v2
	v_add_u32_e32 v2, v5, v5
	s_and_b64 vcc, exec, vcc
	s_mov_b32 s1, 0
	ds_write_b32 v2, v3 offset:512
	s_waitcnt lgkmcnt(0)
	s_barrier
	s_cbranch_vccnz .LBB6_115
; %bb.7:
	v_mul_lo_u32 v1, v1, 14
	s_load_dwordx2 s[2:3], s[4:5], 0x10
	v_mov_b32_e32 v2, 0
	ds_read_b32 v4, v2 offset:1024
	v_lshlrev_b64 v[2:3], 1, v[1:2]
	v_mul_u32_u24_e32 v0, 14, v0
	s_waitcnt lgkmcnt(0)
	v_mov_b32_e32 v6, s3
	v_add_co_u32_e32 v5, vcc, s2, v2
	v_addc_co_u32_e32 v6, vcc, v6, v3, vcc
	v_add_u32_e32 v7, 4, v1
	v_add_u32_e32 v8, 5, v1
	v_add_u32_e32 v9, 6, v1
	v_add_u32_e32 v10, 7, v1
	v_add_u32_e32 v11, 8, v1
	v_add_u32_e32 v12, 9, v1
	v_add_u32_e32 v13, 10, v1
	v_add_u32_e32 v14, 11, v1
	v_add_u32_e32 v15, 12, v1
	v_add_u32_e32 v16, 13, v1
	s_movk_i32 s7, 0xff
	v_mov_b32_e32 v17, 0x81
	s_mov_b32 s8, s6
	s_mov_b32 s0, s1
	v_mov_b32_e32 v18, 0x100
	v_mov_b32_e32 v19, 0x80
	;; [unrolled: 1-line block ×3, first 2 shown]
	s_branch .LBB6_9
.LBB6_8:                                ;   in Loop: Header=BB6_9 Depth=1
	s_or_b64 exec, exec, s[2:3]
	s_addk_i32 s0, 0xe00
	s_addk_i32 s8, 0xf200
	s_cmp_lt_u32 s0, s6
	s_cbranch_scc0 .LBB6_115
.LBB6_9:                                ; =>This Inner Loop Header: Depth=1
	v_add_u32_e32 v2, s0, v0
	v_cmp_lt_u32_e32 vcc, v2, v4
	v_cndmask_b32_e64 v21, v20, 64, vcc
	v_lshlrev_b32_e32 v22, 2, v21
	ds_read_b32 v22, v22 offset:512
	v_cndmask_b32_e64 v3, v17, 0, vcc
	v_cndmask_b32_e32 v23, v18, v19, vcc
	v_or_b32_e32 v24, 1, v21
	s_waitcnt lgkmcnt(0)
	v_cmp_lt_u32_e32 vcc, v2, v22
	v_cndmask_b32_e32 v3, v24, v3, vcc
	v_cndmask_b32_e32 v21, v23, v21, vcc
	v_sub_u32_e32 v22, v21, v3
	v_lshrrev_b16_e32 v23, 15, v22
	v_add_u16_e32 v22, v22, v23
	v_ashrrev_i16_e32 v22, 1, v22
	v_add_u32_sdwa v22, v3, sext(v22) dst_sel:DWORD dst_unused:UNUSED_PAD src0_sel:DWORD src1_sel:WORD_0
	v_min_i32_e32 v22, 0xff, v22
	v_lshlrev_b32_e32 v23, 2, v22
	ds_read_b32 v23, v23 offset:512
	v_add_u32_e32 v24, 1, v22
	s_waitcnt lgkmcnt(0)
	v_cmp_lt_u32_e32 vcc, v2, v23
	v_cndmask_b32_e32 v3, v24, v3, vcc
	v_cndmask_b32_e32 v21, v21, v22, vcc
	v_sub_u32_e32 v22, v21, v3
	v_lshrrev_b16_e32 v23, 15, v22
	v_add_u16_e32 v22, v22, v23
	v_ashrrev_i16_e32 v22, 1, v22
	v_add_u32_sdwa v22, v3, sext(v22) dst_sel:DWORD dst_unused:UNUSED_PAD src0_sel:DWORD src1_sel:WORD_0
	v_min_i32_e32 v22, 0xff, v22
	v_lshlrev_b32_e32 v23, 2, v22
	ds_read_b32 v23, v23 offset:512
	v_add_u32_e32 v24, 1, v22
	;; [unrolled: 13-line block ×7, first 2 shown]
	s_waitcnt lgkmcnt(0)
	v_cmp_lt_u32_e32 vcc, v2, v22
	v_cndmask_b32_e32 v23, v21, v3, vcc
	v_add_u32_e32 v3, -1, v23
	v_cmp_ne_u32_e32 vcc, s7, v3
                                        ; implicit-def: $vgpr22
	s_and_saveexec_b64 s[2:3], vcc
	s_xor_b64 s[2:3], exec, s[2:3]
; %bb.10:                               ;   in Loop: Header=BB6_9 Depth=1
	v_lshlrev_b32_e32 v21, 2, v23
	ds_read_b32 v22, v21 offset:512
; %bb.11:                               ;   in Loop: Header=BB6_9 Depth=1
	s_andn2_saveexec_b64 s[2:3], s[2:3]
	s_cbranch_execz .LBB6_13
; %bb.12:                               ;   in Loop: Header=BB6_9 Depth=1
	s_waitcnt lgkmcnt(0)
	v_add_u32_e32 v22, 14, v2
.LBB6_13:                               ;   in Loop: Header=BB6_9 Depth=1
	s_or_b64 exec, exec, s[2:3]
	v_lshlrev_b32_e32 v21, 1, v3
	ds_read_u16 v21, v21
	s_waitcnt lgkmcnt(1)
	v_add_u32_e32 v31, -1, v22
	v_cmp_eq_u32_e32 vcc, v2, v31
	s_waitcnt lgkmcnt(0)
	v_mov_b32_e32 v22, v21
	s_and_saveexec_b64 s[2:3], vcc
	s_cbranch_execz .LBB6_19
; %bb.14:                               ;   in Loop: Header=BB6_9 Depth=1
	v_cmp_ne_u32_e32 vcc, s7, v23
                                        ; implicit-def: $vgpr3
	s_and_saveexec_b64 s[4:5], vcc
	s_xor_b64 s[4:5], exec, s[4:5]
; %bb.15:                               ;   in Loop: Header=BB6_9 Depth=1
	v_lshlrev_b32_e32 v3, 2, v23
	ds_read_b32 v3, v3 offset:516
; %bb.16:                               ;   in Loop: Header=BB6_9 Depth=1
	s_andn2_saveexec_b64 s[4:5], s[4:5]
	s_cbranch_execz .LBB6_18
; %bb.17:                               ;   in Loop: Header=BB6_9 Depth=1
	s_waitcnt lgkmcnt(0)
	v_add_u32_e32 v3, 14, v2
.LBB6_18:                               ;   in Loop: Header=BB6_9 Depth=1
	s_or_b64 exec, exec, s[4:5]
	v_lshlrev_b32_e32 v22, 1, v23
	ds_read_u16 v22, v22
	s_waitcnt lgkmcnt(1)
	v_add_u32_e32 v31, -1, v3
	v_mov_b32_e32 v3, v23
.LBB6_19:                               ;   in Loop: Header=BB6_9 Depth=1
	s_or_b64 exec, exec, s[2:3]
	v_add_u32_e32 v23, 1, v2
	v_cmp_eq_u32_e32 vcc, v23, v31
	s_waitcnt lgkmcnt(0)
	v_mov_b32_e32 v23, v22
	s_and_saveexec_b64 s[2:3], vcc
	s_cbranch_execz .LBB6_25
; %bb.20:                               ;   in Loop: Header=BB6_9 Depth=1
	v_add_u32_e32 v24, 1, v3
	v_cmp_ne_u32_e32 vcc, s7, v24
                                        ; implicit-def: $vgpr25
	s_and_saveexec_b64 s[4:5], vcc
	s_xor_b64 s[4:5], exec, s[4:5]
; %bb.21:                               ;   in Loop: Header=BB6_9 Depth=1
	v_lshlrev_b32_e32 v23, 2, v3
	ds_read_b32 v25, v23 offset:520
; %bb.22:                               ;   in Loop: Header=BB6_9 Depth=1
	s_andn2_saveexec_b64 s[4:5], s[4:5]
	s_cbranch_execz .LBB6_24
; %bb.23:                               ;   in Loop: Header=BB6_9 Depth=1
	s_waitcnt lgkmcnt(0)
	v_add_u32_e32 v25, 15, v2
.LBB6_24:                               ;   in Loop: Header=BB6_9 Depth=1
	s_or_b64 exec, exec, s[4:5]
	v_lshlrev_b32_e32 v3, 1, v3
	ds_read_u16 v23, v3 offset:2
	s_waitcnt lgkmcnt(1)
	v_add_u32_e32 v31, -1, v25
	v_mov_b32_e32 v3, v24
.LBB6_25:                               ;   in Loop: Header=BB6_9 Depth=1
	s_or_b64 exec, exec, s[2:3]
	v_add_u32_e32 v24, 2, v2
	v_cmp_eq_u32_e32 vcc, v24, v31
	s_waitcnt lgkmcnt(0)
	v_mov_b32_e32 v24, v23
	s_and_saveexec_b64 s[2:3], vcc
	s_cbranch_execz .LBB6_31
; %bb.26:                               ;   in Loop: Header=BB6_9 Depth=1
	v_add_u32_e32 v25, 1, v3
	v_cmp_ne_u32_e32 vcc, s7, v25
                                        ; implicit-def: $vgpr26
	s_and_saveexec_b64 s[4:5], vcc
	s_xor_b64 s[4:5], exec, s[4:5]
; %bb.27:                               ;   in Loop: Header=BB6_9 Depth=1
	v_lshlrev_b32_e32 v24, 2, v3
	ds_read_b32 v26, v24 offset:520
; %bb.28:                               ;   in Loop: Header=BB6_9 Depth=1
	s_andn2_saveexec_b64 s[4:5], s[4:5]
	s_cbranch_execz .LBB6_30
; %bb.29:                               ;   in Loop: Header=BB6_9 Depth=1
	s_waitcnt lgkmcnt(0)
	v_add_u32_e32 v26, 16, v2
.LBB6_30:                               ;   in Loop: Header=BB6_9 Depth=1
	s_or_b64 exec, exec, s[4:5]
	v_lshlrev_b32_e32 v3, 1, v3
	ds_read_u16 v24, v3 offset:2
	s_waitcnt lgkmcnt(1)
	v_add_u32_e32 v31, -1, v26
	v_mov_b32_e32 v3, v25
.LBB6_31:                               ;   in Loop: Header=BB6_9 Depth=1
	s_or_b64 exec, exec, s[2:3]
	v_add_u32_e32 v25, 3, v2
	v_cmp_eq_u32_e32 vcc, v25, v31
	s_waitcnt lgkmcnt(0)
	v_mov_b32_e32 v25, v24
	s_and_saveexec_b64 s[2:3], vcc
	s_cbranch_execz .LBB6_37
; %bb.32:                               ;   in Loop: Header=BB6_9 Depth=1
	v_add_u32_e32 v26, 1, v3
	v_cmp_ne_u32_e32 vcc, s7, v26
                                        ; implicit-def: $vgpr27
	s_and_saveexec_b64 s[4:5], vcc
	s_xor_b64 s[4:5], exec, s[4:5]
; %bb.33:                               ;   in Loop: Header=BB6_9 Depth=1
	v_lshlrev_b32_e32 v25, 2, v3
	ds_read_b32 v27, v25 offset:520
; %bb.34:                               ;   in Loop: Header=BB6_9 Depth=1
	s_andn2_saveexec_b64 s[4:5], s[4:5]
	s_cbranch_execz .LBB6_36
; %bb.35:                               ;   in Loop: Header=BB6_9 Depth=1
	s_waitcnt lgkmcnt(0)
	v_add_u32_e32 v27, 17, v2
.LBB6_36:                               ;   in Loop: Header=BB6_9 Depth=1
	s_or_b64 exec, exec, s[4:5]
	v_lshlrev_b32_e32 v3, 1, v3
	ds_read_u16 v25, v3 offset:2
	s_waitcnt lgkmcnt(1)
	v_add_u32_e32 v31, -1, v27
	v_mov_b32_e32 v3, v26
.LBB6_37:                               ;   in Loop: Header=BB6_9 Depth=1
	s_or_b64 exec, exec, s[2:3]
	v_add_u32_e32 v26, 4, v2
	v_cmp_eq_u32_e32 vcc, v26, v31
	s_waitcnt lgkmcnt(0)
	v_mov_b32_e32 v26, v25
	s_and_saveexec_b64 s[2:3], vcc
	s_cbranch_execz .LBB6_43
; %bb.38:                               ;   in Loop: Header=BB6_9 Depth=1
	v_add_u32_e32 v27, 1, v3
	v_cmp_ne_u32_e32 vcc, s7, v27
                                        ; implicit-def: $vgpr28
	s_and_saveexec_b64 s[4:5], vcc
	s_xor_b64 s[4:5], exec, s[4:5]
; %bb.39:                               ;   in Loop: Header=BB6_9 Depth=1
	v_lshlrev_b32_e32 v26, 2, v3
	ds_read_b32 v28, v26 offset:520
; %bb.40:                               ;   in Loop: Header=BB6_9 Depth=1
	s_andn2_saveexec_b64 s[4:5], s[4:5]
	s_cbranch_execz .LBB6_42
; %bb.41:                               ;   in Loop: Header=BB6_9 Depth=1
	s_waitcnt lgkmcnt(0)
	v_add_u32_e32 v28, 18, v2
.LBB6_42:                               ;   in Loop: Header=BB6_9 Depth=1
	s_or_b64 exec, exec, s[4:5]
	v_lshlrev_b32_e32 v3, 1, v3
	ds_read_u16 v26, v3 offset:2
	s_waitcnt lgkmcnt(1)
	v_add_u32_e32 v31, -1, v28
	v_mov_b32_e32 v3, v27
.LBB6_43:                               ;   in Loop: Header=BB6_9 Depth=1
	s_or_b64 exec, exec, s[2:3]
	v_add_u32_e32 v27, 5, v2
	v_cmp_eq_u32_e32 vcc, v27, v31
	s_waitcnt lgkmcnt(0)
	v_mov_b32_e32 v27, v26
	s_and_saveexec_b64 s[2:3], vcc
	s_cbranch_execz .LBB6_49
; %bb.44:                               ;   in Loop: Header=BB6_9 Depth=1
	v_add_u32_e32 v28, 1, v3
	v_cmp_ne_u32_e32 vcc, s7, v28
                                        ; implicit-def: $vgpr29
	s_and_saveexec_b64 s[4:5], vcc
	s_xor_b64 s[4:5], exec, s[4:5]
; %bb.45:                               ;   in Loop: Header=BB6_9 Depth=1
	v_lshlrev_b32_e32 v27, 2, v3
	ds_read_b32 v29, v27 offset:520
; %bb.46:                               ;   in Loop: Header=BB6_9 Depth=1
	s_andn2_saveexec_b64 s[4:5], s[4:5]
	s_cbranch_execz .LBB6_48
; %bb.47:                               ;   in Loop: Header=BB6_9 Depth=1
	s_waitcnt lgkmcnt(0)
	v_add_u32_e32 v29, 19, v2
.LBB6_48:                               ;   in Loop: Header=BB6_9 Depth=1
	s_or_b64 exec, exec, s[4:5]
	v_lshlrev_b32_e32 v3, 1, v3
	ds_read_u16 v27, v3 offset:2
	s_waitcnt lgkmcnt(1)
	v_add_u32_e32 v31, -1, v29
	v_mov_b32_e32 v3, v28
.LBB6_49:                               ;   in Loop: Header=BB6_9 Depth=1
	s_or_b64 exec, exec, s[2:3]
	v_add_u32_e32 v28, 6, v2
	v_cmp_eq_u32_e32 vcc, v28, v31
	s_waitcnt lgkmcnt(0)
	v_mov_b32_e32 v28, v27
	s_and_saveexec_b64 s[2:3], vcc
	s_cbranch_execz .LBB6_55
; %bb.50:                               ;   in Loop: Header=BB6_9 Depth=1
	v_add_u32_e32 v29, 1, v3
	v_cmp_ne_u32_e32 vcc, s7, v29
                                        ; implicit-def: $vgpr30
	s_and_saveexec_b64 s[4:5], vcc
	s_xor_b64 s[4:5], exec, s[4:5]
; %bb.51:                               ;   in Loop: Header=BB6_9 Depth=1
	v_lshlrev_b32_e32 v28, 2, v3
	ds_read_b32 v30, v28 offset:520
; %bb.52:                               ;   in Loop: Header=BB6_9 Depth=1
	s_andn2_saveexec_b64 s[4:5], s[4:5]
	s_cbranch_execz .LBB6_54
; %bb.53:                               ;   in Loop: Header=BB6_9 Depth=1
	s_waitcnt lgkmcnt(0)
	v_add_u32_e32 v30, 20, v2
.LBB6_54:                               ;   in Loop: Header=BB6_9 Depth=1
	s_or_b64 exec, exec, s[4:5]
	v_lshlrev_b32_e32 v3, 1, v3
	ds_read_u16 v28, v3 offset:2
	s_waitcnt lgkmcnt(1)
	v_add_u32_e32 v31, -1, v30
	v_mov_b32_e32 v3, v29
.LBB6_55:                               ;   in Loop: Header=BB6_9 Depth=1
	s_or_b64 exec, exec, s[2:3]
	v_add_u32_e32 v29, 7, v2
	v_cmp_eq_u32_e32 vcc, v29, v31
	s_waitcnt lgkmcnt(0)
	v_mov_b32_e32 v29, v28
	s_and_saveexec_b64 s[2:3], vcc
	s_cbranch_execz .LBB6_61
; %bb.56:                               ;   in Loop: Header=BB6_9 Depth=1
	v_add_u32_e32 v30, 1, v3
	v_cmp_ne_u32_e32 vcc, s7, v30
                                        ; implicit-def: $vgpr31
	s_and_saveexec_b64 s[4:5], vcc
	s_xor_b64 s[4:5], exec, s[4:5]
; %bb.57:                               ;   in Loop: Header=BB6_9 Depth=1
	v_lshlrev_b32_e32 v29, 2, v3
	ds_read_b32 v31, v29 offset:520
; %bb.58:                               ;   in Loop: Header=BB6_9 Depth=1
	s_andn2_saveexec_b64 s[4:5], s[4:5]
	s_cbranch_execz .LBB6_60
; %bb.59:                               ;   in Loop: Header=BB6_9 Depth=1
	s_waitcnt lgkmcnt(0)
	v_add_u32_e32 v31, 21, v2
.LBB6_60:                               ;   in Loop: Header=BB6_9 Depth=1
	s_or_b64 exec, exec, s[4:5]
	v_lshlrev_b32_e32 v3, 1, v3
	ds_read_u16 v29, v3 offset:2
	s_waitcnt lgkmcnt(1)
	v_add_u32_e32 v31, -1, v31
	v_mov_b32_e32 v3, v30
.LBB6_61:                               ;   in Loop: Header=BB6_9 Depth=1
	s_or_b64 exec, exec, s[2:3]
	v_add_u32_e32 v30, 8, v2
	v_cmp_eq_u32_e32 vcc, v30, v31
	s_waitcnt lgkmcnt(0)
	v_mov_b32_e32 v30, v29
	s_and_saveexec_b64 s[2:3], vcc
	s_cbranch_execz .LBB6_67
; %bb.62:                               ;   in Loop: Header=BB6_9 Depth=1
	v_add_u32_e32 v32, 1, v3
	v_cmp_ne_u32_e32 vcc, s7, v32
                                        ; implicit-def: $vgpr31
	s_and_saveexec_b64 s[4:5], vcc
	s_xor_b64 s[4:5], exec, s[4:5]
; %bb.63:                               ;   in Loop: Header=BB6_9 Depth=1
	v_lshlrev_b32_e32 v30, 2, v3
	ds_read_b32 v31, v30 offset:520
; %bb.64:                               ;   in Loop: Header=BB6_9 Depth=1
	s_andn2_saveexec_b64 s[4:5], s[4:5]
	s_cbranch_execz .LBB6_66
; %bb.65:                               ;   in Loop: Header=BB6_9 Depth=1
	s_waitcnt lgkmcnt(0)
	v_add_u32_e32 v31, 22, v2
.LBB6_66:                               ;   in Loop: Header=BB6_9 Depth=1
	s_or_b64 exec, exec, s[4:5]
	v_lshlrev_b32_e32 v3, 1, v3
	ds_read_u16 v30, v3 offset:2
	s_waitcnt lgkmcnt(1)
	v_add_u32_e32 v31, -1, v31
	v_mov_b32_e32 v3, v32
.LBB6_67:                               ;   in Loop: Header=BB6_9 Depth=1
	;; [unrolled: 30-line block ×5, first 2 shown]
	s_or_b64 exec, exec, s[2:3]
	v_add_u32_e32 v2, 12, v2
	v_cmp_eq_u32_e32 vcc, v2, v31
	s_waitcnt lgkmcnt(0)
	v_mov_b32_e32 v31, v34
	s_and_saveexec_b64 s[2:3], vcc
; %bb.86:                               ;   in Loop: Header=BB6_9 Depth=1
	v_lshlrev_b32_e32 v2, 1, v3
	ds_read_u16 v31, v2 offset:2
; %bb.87:                               ;   in Loop: Header=BB6_9 Depth=1
	s_or_b64 exec, exec, s[2:3]
	s_lshl_b64 s[2:3], s[0:1], 1
	v_mov_b32_e32 v3, s3
	v_add_co_u32_e32 v2, vcc, s2, v5
	s_min_u32 s4, s8, 0xe00
	v_addc_co_u32_e32 v3, vcc, v6, v3, vcc
	v_cmp_gt_u32_e32 vcc, s4, v1
	s_and_saveexec_b64 s[2:3], vcc
	s_cbranch_execz .LBB6_89
; %bb.88:                               ;   in Loop: Header=BB6_9 Depth=1
	global_store_short v[2:3], v21, off
.LBB6_89:                               ;   in Loop: Header=BB6_9 Depth=1
	s_or_b64 exec, exec, s[2:3]
	v_or_b32_e32 v21, 1, v1
	v_cmp_gt_u32_e32 vcc, s4, v21
	s_and_saveexec_b64 s[2:3], vcc
	s_cbranch_execz .LBB6_91
; %bb.90:                               ;   in Loop: Header=BB6_9 Depth=1
	global_store_short v[2:3], v22, off offset:2
.LBB6_91:                               ;   in Loop: Header=BB6_9 Depth=1
	s_or_b64 exec, exec, s[2:3]
	v_add_u32_e32 v21, 2, v1
	v_cmp_gt_u32_e32 vcc, s4, v21
	s_and_saveexec_b64 s[2:3], vcc
	s_cbranch_execz .LBB6_93
; %bb.92:                               ;   in Loop: Header=BB6_9 Depth=1
	global_store_short v[2:3], v23, off offset:4
.LBB6_93:                               ;   in Loop: Header=BB6_9 Depth=1
	s_or_b64 exec, exec, s[2:3]
	v_add_u32_e32 v21, 3, v1
	v_cmp_gt_u32_e32 vcc, s4, v21
	s_and_saveexec_b64 s[2:3], vcc
	s_cbranch_execnz .LBB6_104
; %bb.94:                               ;   in Loop: Header=BB6_9 Depth=1
	s_or_b64 exec, exec, s[2:3]
	v_cmp_gt_u32_e32 vcc, s4, v7
	s_and_saveexec_b64 s[2:3], vcc
	s_cbranch_execnz .LBB6_105
.LBB6_95:                               ;   in Loop: Header=BB6_9 Depth=1
	s_or_b64 exec, exec, s[2:3]
	v_cmp_gt_u32_e32 vcc, s4, v8
	s_and_saveexec_b64 s[2:3], vcc
	s_cbranch_execnz .LBB6_106
.LBB6_96:                               ;   in Loop: Header=BB6_9 Depth=1
	s_or_b64 exec, exec, s[2:3]
	v_cmp_gt_u32_e32 vcc, s4, v9
	s_and_saveexec_b64 s[2:3], vcc
	s_cbranch_execnz .LBB6_107
.LBB6_97:                               ;   in Loop: Header=BB6_9 Depth=1
	s_or_b64 exec, exec, s[2:3]
	v_cmp_gt_u32_e32 vcc, s4, v10
	s_and_saveexec_b64 s[2:3], vcc
	s_cbranch_execnz .LBB6_108
.LBB6_98:                               ;   in Loop: Header=BB6_9 Depth=1
	s_or_b64 exec, exec, s[2:3]
	v_cmp_gt_u32_e32 vcc, s4, v11
	s_and_saveexec_b64 s[2:3], vcc
	s_cbranch_execnz .LBB6_109
.LBB6_99:                               ;   in Loop: Header=BB6_9 Depth=1
	s_or_b64 exec, exec, s[2:3]
	v_cmp_gt_u32_e32 vcc, s4, v12
	s_and_saveexec_b64 s[2:3], vcc
	s_cbranch_execnz .LBB6_110
.LBB6_100:                              ;   in Loop: Header=BB6_9 Depth=1
	s_or_b64 exec, exec, s[2:3]
	v_cmp_gt_u32_e32 vcc, s4, v13
	s_and_saveexec_b64 s[2:3], vcc
	s_cbranch_execnz .LBB6_111
.LBB6_101:                              ;   in Loop: Header=BB6_9 Depth=1
	s_or_b64 exec, exec, s[2:3]
	v_cmp_gt_u32_e32 vcc, s4, v14
	s_and_saveexec_b64 s[2:3], vcc
	s_cbranch_execnz .LBB6_112
.LBB6_102:                              ;   in Loop: Header=BB6_9 Depth=1
	s_or_b64 exec, exec, s[2:3]
	v_cmp_gt_u32_e32 vcc, s4, v15
	s_and_saveexec_b64 s[2:3], vcc
	s_cbranch_execnz .LBB6_113
.LBB6_103:                              ;   in Loop: Header=BB6_9 Depth=1
	s_or_b64 exec, exec, s[2:3]
	v_cmp_gt_u32_e32 vcc, s4, v16
	s_and_saveexec_b64 s[2:3], vcc
	s_cbranch_execz .LBB6_8
	s_branch .LBB6_114
.LBB6_104:                              ;   in Loop: Header=BB6_9 Depth=1
	global_store_short v[2:3], v24, off offset:6
	s_or_b64 exec, exec, s[2:3]
	v_cmp_gt_u32_e32 vcc, s4, v7
	s_and_saveexec_b64 s[2:3], vcc
	s_cbranch_execz .LBB6_95
.LBB6_105:                              ;   in Loop: Header=BB6_9 Depth=1
	global_store_short v[2:3], v25, off offset:8
	s_or_b64 exec, exec, s[2:3]
	v_cmp_gt_u32_e32 vcc, s4, v8
	s_and_saveexec_b64 s[2:3], vcc
	s_cbranch_execz .LBB6_96
.LBB6_106:                              ;   in Loop: Header=BB6_9 Depth=1
	global_store_short v[2:3], v26, off offset:10
	s_or_b64 exec, exec, s[2:3]
	v_cmp_gt_u32_e32 vcc, s4, v9
	s_and_saveexec_b64 s[2:3], vcc
	s_cbranch_execz .LBB6_97
.LBB6_107:                              ;   in Loop: Header=BB6_9 Depth=1
	global_store_short v[2:3], v27, off offset:12
	s_or_b64 exec, exec, s[2:3]
	v_cmp_gt_u32_e32 vcc, s4, v10
	s_and_saveexec_b64 s[2:3], vcc
	s_cbranch_execz .LBB6_98
.LBB6_108:                              ;   in Loop: Header=BB6_9 Depth=1
	global_store_short v[2:3], v28, off offset:14
	s_or_b64 exec, exec, s[2:3]
	v_cmp_gt_u32_e32 vcc, s4, v11
	s_and_saveexec_b64 s[2:3], vcc
	s_cbranch_execz .LBB6_99
.LBB6_109:                              ;   in Loop: Header=BB6_9 Depth=1
	global_store_short v[2:3], v29, off offset:16
	s_or_b64 exec, exec, s[2:3]
	v_cmp_gt_u32_e32 vcc, s4, v12
	s_and_saveexec_b64 s[2:3], vcc
	s_cbranch_execz .LBB6_100
.LBB6_110:                              ;   in Loop: Header=BB6_9 Depth=1
	global_store_short v[2:3], v30, off offset:18
	s_or_b64 exec, exec, s[2:3]
	v_cmp_gt_u32_e32 vcc, s4, v13
	s_and_saveexec_b64 s[2:3], vcc
	s_cbranch_execz .LBB6_101
.LBB6_111:                              ;   in Loop: Header=BB6_9 Depth=1
	global_store_short v[2:3], v32, off offset:20
	s_or_b64 exec, exec, s[2:3]
	v_cmp_gt_u32_e32 vcc, s4, v14
	s_and_saveexec_b64 s[2:3], vcc
	s_cbranch_execz .LBB6_102
.LBB6_112:                              ;   in Loop: Header=BB6_9 Depth=1
	global_store_short v[2:3], v33, off offset:22
	s_or_b64 exec, exec, s[2:3]
	v_cmp_gt_u32_e32 vcc, s4, v15
	s_and_saveexec_b64 s[2:3], vcc
	s_cbranch_execz .LBB6_103
.LBB6_113:                              ;   in Loop: Header=BB6_9 Depth=1
	global_store_short v[2:3], v34, off offset:24
	s_or_b64 exec, exec, s[2:3]
	v_cmp_gt_u32_e32 vcc, s4, v16
	s_and_saveexec_b64 s[2:3], vcc
	s_cbranch_execz .LBB6_8
.LBB6_114:                              ;   in Loop: Header=BB6_9 Depth=1
	s_waitcnt lgkmcnt(0)
	global_store_short v[2:3], v31, off offset:26
	s_branch .LBB6_8
.LBB6_115:
	s_endpgm
	.section	.rodata,"a",@progbits
	.p2align	6, 0x0
	.amdhsa_kernel _Z30block_run_length_decode_kernelI12hip_bfloat16iLj256ELj1ELj14EEvPKT_PKT0_PS1_
		.amdhsa_group_segment_fixed_size 1536
		.amdhsa_private_segment_fixed_size 0
		.amdhsa_kernarg_size 24
		.amdhsa_user_sgpr_count 6
		.amdhsa_user_sgpr_private_segment_buffer 1
		.amdhsa_user_sgpr_dispatch_ptr 0
		.amdhsa_user_sgpr_queue_ptr 0
		.amdhsa_user_sgpr_kernarg_segment_ptr 1
		.amdhsa_user_sgpr_dispatch_id 0
		.amdhsa_user_sgpr_flat_scratch_init 0
		.amdhsa_user_sgpr_private_segment_size 0
		.amdhsa_uses_dynamic_stack 0
		.amdhsa_system_sgpr_private_segment_wavefront_offset 0
		.amdhsa_system_sgpr_workgroup_id_x 1
		.amdhsa_system_sgpr_workgroup_id_y 0
		.amdhsa_system_sgpr_workgroup_id_z 0
		.amdhsa_system_sgpr_workgroup_info 0
		.amdhsa_system_vgpr_workitem_id 0
		.amdhsa_next_free_vgpr 36
		.amdhsa_next_free_sgpr 9
		.amdhsa_reserve_vcc 1
		.amdhsa_reserve_flat_scratch 0
		.amdhsa_float_round_mode_32 0
		.amdhsa_float_round_mode_16_64 0
		.amdhsa_float_denorm_mode_32 3
		.amdhsa_float_denorm_mode_16_64 3
		.amdhsa_dx10_clamp 1
		.amdhsa_ieee_mode 1
		.amdhsa_fp16_overflow 0
		.amdhsa_exception_fp_ieee_invalid_op 0
		.amdhsa_exception_fp_denorm_src 0
		.amdhsa_exception_fp_ieee_div_zero 0
		.amdhsa_exception_fp_ieee_overflow 0
		.amdhsa_exception_fp_ieee_underflow 0
		.amdhsa_exception_fp_ieee_inexact 0
		.amdhsa_exception_int_div_zero 0
	.end_amdhsa_kernel
	.section	.text._Z30block_run_length_decode_kernelI12hip_bfloat16iLj256ELj1ELj14EEvPKT_PKT0_PS1_,"axG",@progbits,_Z30block_run_length_decode_kernelI12hip_bfloat16iLj256ELj1ELj14EEvPKT_PKT0_PS1_,comdat
.Lfunc_end6:
	.size	_Z30block_run_length_decode_kernelI12hip_bfloat16iLj256ELj1ELj14EEvPKT_PKT0_PS1_, .Lfunc_end6-_Z30block_run_length_decode_kernelI12hip_bfloat16iLj256ELj1ELj14EEvPKT_PKT0_PS1_
                                        ; -- End function
	.set _Z30block_run_length_decode_kernelI12hip_bfloat16iLj256ELj1ELj14EEvPKT_PKT0_PS1_.num_vgpr, 36
	.set _Z30block_run_length_decode_kernelI12hip_bfloat16iLj256ELj1ELj14EEvPKT_PKT0_PS1_.num_agpr, 0
	.set _Z30block_run_length_decode_kernelI12hip_bfloat16iLj256ELj1ELj14EEvPKT_PKT0_PS1_.numbered_sgpr, 9
	.set _Z30block_run_length_decode_kernelI12hip_bfloat16iLj256ELj1ELj14EEvPKT_PKT0_PS1_.num_named_barrier, 0
	.set _Z30block_run_length_decode_kernelI12hip_bfloat16iLj256ELj1ELj14EEvPKT_PKT0_PS1_.private_seg_size, 0
	.set _Z30block_run_length_decode_kernelI12hip_bfloat16iLj256ELj1ELj14EEvPKT_PKT0_PS1_.uses_vcc, 1
	.set _Z30block_run_length_decode_kernelI12hip_bfloat16iLj256ELj1ELj14EEvPKT_PKT0_PS1_.uses_flat_scratch, 0
	.set _Z30block_run_length_decode_kernelI12hip_bfloat16iLj256ELj1ELj14EEvPKT_PKT0_PS1_.has_dyn_sized_stack, 0
	.set _Z30block_run_length_decode_kernelI12hip_bfloat16iLj256ELj1ELj14EEvPKT_PKT0_PS1_.has_recursion, 0
	.set _Z30block_run_length_decode_kernelI12hip_bfloat16iLj256ELj1ELj14EEvPKT_PKT0_PS1_.has_indirect_call, 0
	.section	.AMDGPU.csdata,"",@progbits
; Kernel info:
; codeLenInByte = 3044
; TotalNumSgprs: 13
; NumVgprs: 36
; ScratchSize: 0
; MemoryBound: 0
; FloatMode: 240
; IeeeMode: 1
; LDSByteSize: 1536 bytes/workgroup (compile time only)
; SGPRBlocks: 1
; VGPRBlocks: 8
; NumSGPRsForWavesPerEU: 13
; NumVGPRsForWavesPerEU: 36
; Occupancy: 7
; WaveLimiterHint : 0
; COMPUTE_PGM_RSRC2:SCRATCH_EN: 0
; COMPUTE_PGM_RSRC2:USER_SGPR: 6
; COMPUTE_PGM_RSRC2:TRAP_HANDLER: 0
; COMPUTE_PGM_RSRC2:TGID_X_EN: 1
; COMPUTE_PGM_RSRC2:TGID_Y_EN: 0
; COMPUTE_PGM_RSRC2:TGID_Z_EN: 0
; COMPUTE_PGM_RSRC2:TIDIG_COMP_CNT: 0
	.section	.text._Z30block_run_length_decode_kernelI6__halfiLj256ELj1ELj14EEvPKT_PKT0_PS1_,"axG",@progbits,_Z30block_run_length_decode_kernelI6__halfiLj256ELj1ELj14EEvPKT_PKT0_PS1_,comdat
	.protected	_Z30block_run_length_decode_kernelI6__halfiLj256ELj1ELj14EEvPKT_PKT0_PS1_ ; -- Begin function _Z30block_run_length_decode_kernelI6__halfiLj256ELj1ELj14EEvPKT_PKT0_PS1_
	.globl	_Z30block_run_length_decode_kernelI6__halfiLj256ELj1ELj14EEvPKT_PKT0_PS1_
	.p2align	8
	.type	_Z30block_run_length_decode_kernelI6__halfiLj256ELj1ELj14EEvPKT_PKT0_PS1_,@function
_Z30block_run_length_decode_kernelI6__halfiLj256ELj1ELj14EEvPKT_PKT0_PS1_: ; @_Z30block_run_length_decode_kernelI6__halfiLj256ELj1ELj14EEvPKT_PKT0_PS1_
; %bb.0:
	s_load_dwordx4 s[0:3], s[4:5], 0x0
	v_lshl_or_b32 v1, s6, 8, v0
	v_mov_b32_e32 v2, 0
	v_lshlrev_b64 v[3:4], 2, v[1:2]
	v_or_b32_e32 v6, 63, v0
	s_waitcnt lgkmcnt(0)
	v_mov_b32_e32 v5, s3
	v_add_co_u32_e32 v3, vcc, s2, v3
	v_addc_co_u32_e32 v4, vcc, v5, v4, vcc
	global_load_dword v5, v[3:4], off
	v_lshlrev_b64 v[2:3], 1, v[1:2]
	v_mov_b32_e32 v4, s1
	v_add_co_u32_e32 v2, vcc, s0, v2
	v_addc_co_u32_e32 v3, vcc, v4, v3, vcc
	global_load_ushort v2, v[2:3], off
	v_mbcnt_lo_u32_b32 v3, -1, 0
	v_mbcnt_hi_u32_b32 v3, -1, v3
	v_and_b32_e32 v7, 15, v3
	v_cmp_ne_u32_e32 vcc, 0, v7
	v_bfe_i32 v8, v3, 4, 1
	v_lshrrev_b32_e32 v4, 6, v0
	s_waitcnt vmcnt(1)
	v_mov_b32_dpp v9, v5 row_shr:1 row_mask:0xf bank_mask:0xf
	v_cndmask_b32_e32 v9, 0, v9, vcc
	v_add_u32_e32 v5, v9, v5
	v_cmp_lt_u32_e32 vcc, 1, v7
	s_nop 0
	v_mov_b32_dpp v9, v5 row_shr:2 row_mask:0xf bank_mask:0xf
	v_cndmask_b32_e32 v9, 0, v9, vcc
	v_add_u32_e32 v5, v5, v9
	v_cmp_lt_u32_e32 vcc, 3, v7
	s_nop 0
	;; [unrolled: 5-line block ×4, first 2 shown]
	v_mov_b32_dpp v7, v5 row_bcast:15 row_mask:0xf bank_mask:0xf
	v_and_b32_e32 v7, v8, v7
	v_add_u32_e32 v5, v5, v7
	s_nop 1
	v_mov_b32_dpp v7, v5 row_bcast:31 row_mask:0xf bank_mask:0xf
	v_cndmask_b32_e32 v7, 0, v7, vcc
	v_add_u32_e32 v5, v5, v7
	v_cmp_eq_u32_e32 vcc, v0, v6
	s_and_saveexec_b64 s[0:1], vcc
; %bb.1:
	v_lshlrev_b32_e32 v6, 2, v4
	ds_write_b32 v6, v5
; %bb.2:
	s_or_b64 exec, exec, s[0:1]
	v_cmp_gt_u32_e32 vcc, 4, v0
	s_waitcnt vmcnt(0) lgkmcnt(0)
	s_barrier
	s_and_saveexec_b64 s[0:1], vcc
	s_cbranch_execz .LBB7_4
; %bb.3:
	v_lshlrev_b32_e32 v6, 2, v0
	ds_read_b32 v7, v6
	v_and_b32_e32 v8, 3, v3
	v_cmp_ne_u32_e32 vcc, 0, v8
	s_waitcnt lgkmcnt(0)
	v_mov_b32_dpp v9, v7 row_shr:1 row_mask:0xf bank_mask:0xf
	v_cndmask_b32_e32 v9, 0, v9, vcc
	v_add_u32_e32 v7, v9, v7
	v_cmp_lt_u32_e32 vcc, 1, v8
	s_nop 0
	v_mov_b32_dpp v9, v7 row_shr:2 row_mask:0xf bank_mask:0xf
	v_cndmask_b32_e32 v8, 0, v9, vcc
	v_add_u32_e32 v7, v7, v8
	ds_write_b32 v6, v7
.LBB7_4:
	s_or_b64 exec, exec, s[0:1]
	v_cmp_lt_u32_e32 vcc, 63, v0
	v_mov_b32_e32 v6, 0
	v_mov_b32_e32 v7, 0
	s_waitcnt lgkmcnt(0)
	s_barrier
	s_and_saveexec_b64 s[0:1], vcc
; %bb.5:
	v_lshl_add_u32 v4, v4, 2, -4
	ds_read_b32 v7, v4
; %bb.6:
	s_or_b64 exec, exec, s[0:1]
	s_waitcnt lgkmcnt(0)
	v_add_u32_e32 v4, v7, v5
	v_subrev_co_u32_e32 v5, vcc, 1, v3
	v_and_b32_e32 v8, 64, v3
	v_cmp_lt_i32_e64 s[0:1], v5, v8
	v_cndmask_b32_e64 v3, v5, v3, s[0:1]
	v_lshlrev_b32_e32 v3, 2, v3
	ds_bpermute_b32 v3, v3, v4
	ds_read_b32 v4, v6 offset:12
	v_lshlrev_b32_e32 v5, 1, v0
	s_waitcnt lgkmcnt(0)
	s_barrier
	v_cndmask_b32_e32 v3, v3, v7, vcc
	v_cmp_eq_u32_e32 vcc, 0, v4
	v_readfirstlane_b32 s6, v4
	ds_write_b16 v5, v2
	v_add_u32_e32 v2, v5, v5
	s_and_b64 vcc, exec, vcc
	s_mov_b32 s1, 0
	ds_write_b32 v2, v3 offset:512
	s_waitcnt lgkmcnt(0)
	s_barrier
	s_cbranch_vccnz .LBB7_115
; %bb.7:
	v_mul_lo_u32 v1, v1, 14
	s_load_dwordx2 s[2:3], s[4:5], 0x10
	v_mov_b32_e32 v2, 0
	ds_read_b32 v16, v2 offset:1024
	v_lshlrev_b64 v[4:5], 1, v[1:2]
	v_mul_u32_u24_e32 v0, 14, v0
	s_waitcnt lgkmcnt(0)
	v_mov_b32_e32 v3, s3
	v_add_co_u32_e32 v4, vcc, s2, v4
	v_addc_co_u32_e32 v5, vcc, v3, v5, vcc
	v_add_u32_e32 v6, 4, v1
	v_add_u32_e32 v7, 5, v1
	;; [unrolled: 1-line block ×10, first 2 shown]
	s_movk_i32 s7, 0xff
	v_mov_b32_e32 v17, 0x81
	s_mov_b32 s8, s6
	s_mov_b32 s0, s1
	v_mov_b32_e32 v18, 0x100
	v_mov_b32_e32 v19, 0x80
	;; [unrolled: 1-line block ×3, first 2 shown]
	s_branch .LBB7_9
.LBB7_8:                                ;   in Loop: Header=BB7_9 Depth=1
	s_or_b64 exec, exec, s[2:3]
	s_addk_i32 s0, 0xe00
	s_addk_i32 s8, 0xf200
	s_cmp_lt_u32 s0, s6
	s_cbranch_scc0 .LBB7_115
.LBB7_9:                                ; =>This Inner Loop Header: Depth=1
	v_add_u32_e32 v2, s0, v0
	v_cmp_lt_u32_e32 vcc, v2, v16
	v_cndmask_b32_e64 v21, v20, 64, vcc
	v_lshlrev_b32_e32 v22, 2, v21
	ds_read_b32 v22, v22 offset:512
	v_cndmask_b32_e64 v3, v17, 0, vcc
	v_cndmask_b32_e32 v23, v18, v19, vcc
	v_or_b32_e32 v24, 1, v21
	s_waitcnt lgkmcnt(0)
	v_cmp_lt_u32_e32 vcc, v2, v22
	v_cndmask_b32_e32 v3, v24, v3, vcc
	v_cndmask_b32_e32 v21, v23, v21, vcc
	v_sub_u32_e32 v22, v21, v3
	v_lshrrev_b16_e32 v23, 15, v22
	v_add_u16_e32 v22, v22, v23
	v_ashrrev_i16_e32 v22, 1, v22
	v_add_u32_sdwa v22, v3, sext(v22) dst_sel:DWORD dst_unused:UNUSED_PAD src0_sel:DWORD src1_sel:WORD_0
	v_min_i32_e32 v22, 0xff, v22
	v_lshlrev_b32_e32 v23, 2, v22
	ds_read_b32 v23, v23 offset:512
	v_add_u32_e32 v24, 1, v22
	s_waitcnt lgkmcnt(0)
	v_cmp_lt_u32_e32 vcc, v2, v23
	v_cndmask_b32_e32 v3, v24, v3, vcc
	v_cndmask_b32_e32 v21, v21, v22, vcc
	v_sub_u32_e32 v22, v21, v3
	v_lshrrev_b16_e32 v23, 15, v22
	v_add_u16_e32 v22, v22, v23
	v_ashrrev_i16_e32 v22, 1, v22
	v_add_u32_sdwa v22, v3, sext(v22) dst_sel:DWORD dst_unused:UNUSED_PAD src0_sel:DWORD src1_sel:WORD_0
	v_min_i32_e32 v22, 0xff, v22
	v_lshlrev_b32_e32 v23, 2, v22
	ds_read_b32 v23, v23 offset:512
	v_add_u32_e32 v24, 1, v22
	;; [unrolled: 13-line block ×7, first 2 shown]
	s_waitcnt lgkmcnt(0)
	v_cmp_lt_u32_e32 vcc, v2, v22
	v_cndmask_b32_e32 v23, v21, v3, vcc
	v_add_u32_e32 v3, -1, v23
	v_cmp_ne_u32_e32 vcc, s7, v3
                                        ; implicit-def: $vgpr22
	s_and_saveexec_b64 s[2:3], vcc
	s_xor_b64 s[2:3], exec, s[2:3]
; %bb.10:                               ;   in Loop: Header=BB7_9 Depth=1
	v_lshlrev_b32_e32 v21, 2, v23
	ds_read_b32 v22, v21 offset:512
; %bb.11:                               ;   in Loop: Header=BB7_9 Depth=1
	s_andn2_saveexec_b64 s[2:3], s[2:3]
	s_cbranch_execz .LBB7_13
; %bb.12:                               ;   in Loop: Header=BB7_9 Depth=1
	s_waitcnt lgkmcnt(0)
	v_add_u32_e32 v22, 14, v2
.LBB7_13:                               ;   in Loop: Header=BB7_9 Depth=1
	s_or_b64 exec, exec, s[2:3]
	v_lshlrev_b32_e32 v21, 1, v3
	ds_read_u16 v21, v21
	s_waitcnt lgkmcnt(1)
	v_add_u32_e32 v31, -1, v22
	v_cmp_eq_u32_e32 vcc, v2, v31
	s_waitcnt lgkmcnt(0)
	v_mov_b32_e32 v22, v21
	s_and_saveexec_b64 s[2:3], vcc
	s_cbranch_execz .LBB7_19
; %bb.14:                               ;   in Loop: Header=BB7_9 Depth=1
	v_cmp_ne_u32_e32 vcc, s7, v23
                                        ; implicit-def: $vgpr3
	s_and_saveexec_b64 s[4:5], vcc
	s_xor_b64 s[4:5], exec, s[4:5]
; %bb.15:                               ;   in Loop: Header=BB7_9 Depth=1
	v_lshlrev_b32_e32 v3, 2, v23
	ds_read_b32 v3, v3 offset:516
; %bb.16:                               ;   in Loop: Header=BB7_9 Depth=1
	s_andn2_saveexec_b64 s[4:5], s[4:5]
	s_cbranch_execz .LBB7_18
; %bb.17:                               ;   in Loop: Header=BB7_9 Depth=1
	s_waitcnt lgkmcnt(0)
	v_add_u32_e32 v3, 14, v2
.LBB7_18:                               ;   in Loop: Header=BB7_9 Depth=1
	s_or_b64 exec, exec, s[4:5]
	v_lshlrev_b32_e32 v22, 1, v23
	ds_read_u16 v22, v22
	s_waitcnt lgkmcnt(1)
	v_add_u32_e32 v31, -1, v3
	v_mov_b32_e32 v3, v23
.LBB7_19:                               ;   in Loop: Header=BB7_9 Depth=1
	s_or_b64 exec, exec, s[2:3]
	v_add_u32_e32 v23, 1, v2
	v_cmp_eq_u32_e32 vcc, v23, v31
	s_waitcnt lgkmcnt(0)
	v_mov_b32_e32 v23, v22
	s_and_saveexec_b64 s[2:3], vcc
	s_cbranch_execz .LBB7_25
; %bb.20:                               ;   in Loop: Header=BB7_9 Depth=1
	v_add_u32_e32 v24, 1, v3
	v_cmp_ne_u32_e32 vcc, s7, v24
                                        ; implicit-def: $vgpr25
	s_and_saveexec_b64 s[4:5], vcc
	s_xor_b64 s[4:5], exec, s[4:5]
; %bb.21:                               ;   in Loop: Header=BB7_9 Depth=1
	v_lshlrev_b32_e32 v23, 2, v3
	ds_read_b32 v25, v23 offset:520
; %bb.22:                               ;   in Loop: Header=BB7_9 Depth=1
	s_andn2_saveexec_b64 s[4:5], s[4:5]
	s_cbranch_execz .LBB7_24
; %bb.23:                               ;   in Loop: Header=BB7_9 Depth=1
	s_waitcnt lgkmcnt(0)
	v_add_u32_e32 v25, 15, v2
.LBB7_24:                               ;   in Loop: Header=BB7_9 Depth=1
	s_or_b64 exec, exec, s[4:5]
	v_lshlrev_b32_e32 v3, 1, v3
	ds_read_u16 v23, v3 offset:2
	s_waitcnt lgkmcnt(1)
	v_add_u32_e32 v31, -1, v25
	v_mov_b32_e32 v3, v24
.LBB7_25:                               ;   in Loop: Header=BB7_9 Depth=1
	s_or_b64 exec, exec, s[2:3]
	v_add_u32_e32 v24, 2, v2
	v_cmp_eq_u32_e32 vcc, v24, v31
	s_waitcnt lgkmcnt(0)
	v_mov_b32_e32 v24, v23
	s_and_saveexec_b64 s[2:3], vcc
	s_cbranch_execz .LBB7_31
; %bb.26:                               ;   in Loop: Header=BB7_9 Depth=1
	v_add_u32_e32 v25, 1, v3
	v_cmp_ne_u32_e32 vcc, s7, v25
                                        ; implicit-def: $vgpr26
	s_and_saveexec_b64 s[4:5], vcc
	s_xor_b64 s[4:5], exec, s[4:5]
; %bb.27:                               ;   in Loop: Header=BB7_9 Depth=1
	v_lshlrev_b32_e32 v24, 2, v3
	ds_read_b32 v26, v24 offset:520
; %bb.28:                               ;   in Loop: Header=BB7_9 Depth=1
	s_andn2_saveexec_b64 s[4:5], s[4:5]
	s_cbranch_execz .LBB7_30
; %bb.29:                               ;   in Loop: Header=BB7_9 Depth=1
	s_waitcnt lgkmcnt(0)
	v_add_u32_e32 v26, 16, v2
.LBB7_30:                               ;   in Loop: Header=BB7_9 Depth=1
	s_or_b64 exec, exec, s[4:5]
	v_lshlrev_b32_e32 v3, 1, v3
	ds_read_u16 v24, v3 offset:2
	s_waitcnt lgkmcnt(1)
	v_add_u32_e32 v31, -1, v26
	v_mov_b32_e32 v3, v25
.LBB7_31:                               ;   in Loop: Header=BB7_9 Depth=1
	s_or_b64 exec, exec, s[2:3]
	v_add_u32_e32 v25, 3, v2
	v_cmp_eq_u32_e32 vcc, v25, v31
	s_waitcnt lgkmcnt(0)
	v_mov_b32_e32 v25, v24
	s_and_saveexec_b64 s[2:3], vcc
	s_cbranch_execz .LBB7_37
; %bb.32:                               ;   in Loop: Header=BB7_9 Depth=1
	v_add_u32_e32 v26, 1, v3
	v_cmp_ne_u32_e32 vcc, s7, v26
                                        ; implicit-def: $vgpr27
	s_and_saveexec_b64 s[4:5], vcc
	s_xor_b64 s[4:5], exec, s[4:5]
; %bb.33:                               ;   in Loop: Header=BB7_9 Depth=1
	v_lshlrev_b32_e32 v25, 2, v3
	ds_read_b32 v27, v25 offset:520
; %bb.34:                               ;   in Loop: Header=BB7_9 Depth=1
	s_andn2_saveexec_b64 s[4:5], s[4:5]
	s_cbranch_execz .LBB7_36
; %bb.35:                               ;   in Loop: Header=BB7_9 Depth=1
	s_waitcnt lgkmcnt(0)
	v_add_u32_e32 v27, 17, v2
.LBB7_36:                               ;   in Loop: Header=BB7_9 Depth=1
	s_or_b64 exec, exec, s[4:5]
	v_lshlrev_b32_e32 v3, 1, v3
	ds_read_u16 v25, v3 offset:2
	s_waitcnt lgkmcnt(1)
	v_add_u32_e32 v31, -1, v27
	v_mov_b32_e32 v3, v26
.LBB7_37:                               ;   in Loop: Header=BB7_9 Depth=1
	s_or_b64 exec, exec, s[2:3]
	v_add_u32_e32 v26, 4, v2
	v_cmp_eq_u32_e32 vcc, v26, v31
	s_waitcnt lgkmcnt(0)
	v_mov_b32_e32 v26, v25
	s_and_saveexec_b64 s[2:3], vcc
	s_cbranch_execz .LBB7_43
; %bb.38:                               ;   in Loop: Header=BB7_9 Depth=1
	v_add_u32_e32 v27, 1, v3
	v_cmp_ne_u32_e32 vcc, s7, v27
                                        ; implicit-def: $vgpr28
	s_and_saveexec_b64 s[4:5], vcc
	s_xor_b64 s[4:5], exec, s[4:5]
; %bb.39:                               ;   in Loop: Header=BB7_9 Depth=1
	v_lshlrev_b32_e32 v26, 2, v3
	ds_read_b32 v28, v26 offset:520
; %bb.40:                               ;   in Loop: Header=BB7_9 Depth=1
	s_andn2_saveexec_b64 s[4:5], s[4:5]
	s_cbranch_execz .LBB7_42
; %bb.41:                               ;   in Loop: Header=BB7_9 Depth=1
	s_waitcnt lgkmcnt(0)
	v_add_u32_e32 v28, 18, v2
.LBB7_42:                               ;   in Loop: Header=BB7_9 Depth=1
	s_or_b64 exec, exec, s[4:5]
	v_lshlrev_b32_e32 v3, 1, v3
	ds_read_u16 v26, v3 offset:2
	s_waitcnt lgkmcnt(1)
	v_add_u32_e32 v31, -1, v28
	v_mov_b32_e32 v3, v27
.LBB7_43:                               ;   in Loop: Header=BB7_9 Depth=1
	s_or_b64 exec, exec, s[2:3]
	v_add_u32_e32 v27, 5, v2
	v_cmp_eq_u32_e32 vcc, v27, v31
	s_waitcnt lgkmcnt(0)
	v_mov_b32_e32 v27, v26
	s_and_saveexec_b64 s[2:3], vcc
	s_cbranch_execz .LBB7_49
; %bb.44:                               ;   in Loop: Header=BB7_9 Depth=1
	v_add_u32_e32 v28, 1, v3
	v_cmp_ne_u32_e32 vcc, s7, v28
                                        ; implicit-def: $vgpr29
	s_and_saveexec_b64 s[4:5], vcc
	s_xor_b64 s[4:5], exec, s[4:5]
; %bb.45:                               ;   in Loop: Header=BB7_9 Depth=1
	v_lshlrev_b32_e32 v27, 2, v3
	ds_read_b32 v29, v27 offset:520
; %bb.46:                               ;   in Loop: Header=BB7_9 Depth=1
	s_andn2_saveexec_b64 s[4:5], s[4:5]
	s_cbranch_execz .LBB7_48
; %bb.47:                               ;   in Loop: Header=BB7_9 Depth=1
	s_waitcnt lgkmcnt(0)
	v_add_u32_e32 v29, 19, v2
.LBB7_48:                               ;   in Loop: Header=BB7_9 Depth=1
	s_or_b64 exec, exec, s[4:5]
	v_lshlrev_b32_e32 v3, 1, v3
	ds_read_u16 v27, v3 offset:2
	s_waitcnt lgkmcnt(1)
	v_add_u32_e32 v31, -1, v29
	v_mov_b32_e32 v3, v28
.LBB7_49:                               ;   in Loop: Header=BB7_9 Depth=1
	s_or_b64 exec, exec, s[2:3]
	v_add_u32_e32 v28, 6, v2
	v_cmp_eq_u32_e32 vcc, v28, v31
	s_waitcnt lgkmcnt(0)
	v_mov_b32_e32 v28, v27
	s_and_saveexec_b64 s[2:3], vcc
	s_cbranch_execz .LBB7_55
; %bb.50:                               ;   in Loop: Header=BB7_9 Depth=1
	v_add_u32_e32 v29, 1, v3
	v_cmp_ne_u32_e32 vcc, s7, v29
                                        ; implicit-def: $vgpr30
	s_and_saveexec_b64 s[4:5], vcc
	s_xor_b64 s[4:5], exec, s[4:5]
; %bb.51:                               ;   in Loop: Header=BB7_9 Depth=1
	v_lshlrev_b32_e32 v28, 2, v3
	ds_read_b32 v30, v28 offset:520
; %bb.52:                               ;   in Loop: Header=BB7_9 Depth=1
	s_andn2_saveexec_b64 s[4:5], s[4:5]
	s_cbranch_execz .LBB7_54
; %bb.53:                               ;   in Loop: Header=BB7_9 Depth=1
	s_waitcnt lgkmcnt(0)
	v_add_u32_e32 v30, 20, v2
.LBB7_54:                               ;   in Loop: Header=BB7_9 Depth=1
	s_or_b64 exec, exec, s[4:5]
	v_lshlrev_b32_e32 v3, 1, v3
	ds_read_u16 v28, v3 offset:2
	s_waitcnt lgkmcnt(1)
	v_add_u32_e32 v31, -1, v30
	v_mov_b32_e32 v3, v29
.LBB7_55:                               ;   in Loop: Header=BB7_9 Depth=1
	s_or_b64 exec, exec, s[2:3]
	v_add_u32_e32 v29, 7, v2
	v_cmp_eq_u32_e32 vcc, v29, v31
	s_waitcnt lgkmcnt(0)
	v_mov_b32_e32 v29, v28
	s_and_saveexec_b64 s[2:3], vcc
	s_cbranch_execz .LBB7_61
; %bb.56:                               ;   in Loop: Header=BB7_9 Depth=1
	v_add_u32_e32 v30, 1, v3
	v_cmp_ne_u32_e32 vcc, s7, v30
                                        ; implicit-def: $vgpr31
	s_and_saveexec_b64 s[4:5], vcc
	s_xor_b64 s[4:5], exec, s[4:5]
; %bb.57:                               ;   in Loop: Header=BB7_9 Depth=1
	v_lshlrev_b32_e32 v29, 2, v3
	ds_read_b32 v31, v29 offset:520
; %bb.58:                               ;   in Loop: Header=BB7_9 Depth=1
	s_andn2_saveexec_b64 s[4:5], s[4:5]
	s_cbranch_execz .LBB7_60
; %bb.59:                               ;   in Loop: Header=BB7_9 Depth=1
	s_waitcnt lgkmcnt(0)
	v_add_u32_e32 v31, 21, v2
.LBB7_60:                               ;   in Loop: Header=BB7_9 Depth=1
	s_or_b64 exec, exec, s[4:5]
	v_lshlrev_b32_e32 v3, 1, v3
	ds_read_u16 v29, v3 offset:2
	s_waitcnt lgkmcnt(1)
	v_add_u32_e32 v31, -1, v31
	v_mov_b32_e32 v3, v30
.LBB7_61:                               ;   in Loop: Header=BB7_9 Depth=1
	s_or_b64 exec, exec, s[2:3]
	v_add_u32_e32 v30, 8, v2
	v_cmp_eq_u32_e32 vcc, v30, v31
	s_waitcnt lgkmcnt(0)
	v_mov_b32_e32 v30, v29
	s_and_saveexec_b64 s[2:3], vcc
	s_cbranch_execz .LBB7_67
; %bb.62:                               ;   in Loop: Header=BB7_9 Depth=1
	v_add_u32_e32 v32, 1, v3
	v_cmp_ne_u32_e32 vcc, s7, v32
                                        ; implicit-def: $vgpr31
	s_and_saveexec_b64 s[4:5], vcc
	s_xor_b64 s[4:5], exec, s[4:5]
; %bb.63:                               ;   in Loop: Header=BB7_9 Depth=1
	v_lshlrev_b32_e32 v30, 2, v3
	ds_read_b32 v31, v30 offset:520
; %bb.64:                               ;   in Loop: Header=BB7_9 Depth=1
	s_andn2_saveexec_b64 s[4:5], s[4:5]
	s_cbranch_execz .LBB7_66
; %bb.65:                               ;   in Loop: Header=BB7_9 Depth=1
	s_waitcnt lgkmcnt(0)
	v_add_u32_e32 v31, 22, v2
.LBB7_66:                               ;   in Loop: Header=BB7_9 Depth=1
	s_or_b64 exec, exec, s[4:5]
	v_lshlrev_b32_e32 v3, 1, v3
	ds_read_u16 v30, v3 offset:2
	s_waitcnt lgkmcnt(1)
	v_add_u32_e32 v31, -1, v31
	v_mov_b32_e32 v3, v32
.LBB7_67:                               ;   in Loop: Header=BB7_9 Depth=1
	;; [unrolled: 30-line block ×5, first 2 shown]
	s_or_b64 exec, exec, s[2:3]
	v_add_u32_e32 v2, 12, v2
	v_cmp_eq_u32_e32 vcc, v2, v31
	s_waitcnt lgkmcnt(0)
	v_mov_b32_e32 v31, v34
	s_and_saveexec_b64 s[2:3], vcc
; %bb.86:                               ;   in Loop: Header=BB7_9 Depth=1
	v_lshlrev_b32_e32 v2, 1, v3
	ds_read_u16 v31, v2 offset:2
; %bb.87:                               ;   in Loop: Header=BB7_9 Depth=1
	s_or_b64 exec, exec, s[2:3]
	s_lshl_b64 s[2:3], s[0:1], 1
	v_mov_b32_e32 v3, s3
	v_add_co_u32_e32 v2, vcc, s2, v4
	s_min_u32 s4, s8, 0xe00
	v_addc_co_u32_e32 v3, vcc, v5, v3, vcc
	v_cmp_gt_u32_e32 vcc, s4, v1
	s_and_saveexec_b64 s[2:3], vcc
	s_cbranch_execz .LBB7_89
; %bb.88:                               ;   in Loop: Header=BB7_9 Depth=1
	global_store_short v[2:3], v21, off
.LBB7_89:                               ;   in Loop: Header=BB7_9 Depth=1
	s_or_b64 exec, exec, s[2:3]
	v_or_b32_e32 v21, 1, v1
	v_cmp_gt_u32_e32 vcc, s4, v21
	s_and_saveexec_b64 s[2:3], vcc
	s_cbranch_execz .LBB7_91
; %bb.90:                               ;   in Loop: Header=BB7_9 Depth=1
	global_store_short v[2:3], v22, off offset:2
.LBB7_91:                               ;   in Loop: Header=BB7_9 Depth=1
	s_or_b64 exec, exec, s[2:3]
	v_add_u32_e32 v21, 2, v1
	v_cmp_gt_u32_e32 vcc, s4, v21
	s_and_saveexec_b64 s[2:3], vcc
	s_cbranch_execz .LBB7_93
; %bb.92:                               ;   in Loop: Header=BB7_9 Depth=1
	global_store_short v[2:3], v23, off offset:4
.LBB7_93:                               ;   in Loop: Header=BB7_9 Depth=1
	s_or_b64 exec, exec, s[2:3]
	v_add_u32_e32 v21, 3, v1
	v_cmp_gt_u32_e32 vcc, s4, v21
	s_and_saveexec_b64 s[2:3], vcc
	s_cbranch_execnz .LBB7_104
; %bb.94:                               ;   in Loop: Header=BB7_9 Depth=1
	s_or_b64 exec, exec, s[2:3]
	v_cmp_gt_u32_e32 vcc, s4, v6
	s_and_saveexec_b64 s[2:3], vcc
	s_cbranch_execnz .LBB7_105
.LBB7_95:                               ;   in Loop: Header=BB7_9 Depth=1
	s_or_b64 exec, exec, s[2:3]
	v_cmp_gt_u32_e32 vcc, s4, v7
	s_and_saveexec_b64 s[2:3], vcc
	s_cbranch_execnz .LBB7_106
.LBB7_96:                               ;   in Loop: Header=BB7_9 Depth=1
	s_or_b64 exec, exec, s[2:3]
	v_cmp_gt_u32_e32 vcc, s4, v8
	s_and_saveexec_b64 s[2:3], vcc
	s_cbranch_execnz .LBB7_107
.LBB7_97:                               ;   in Loop: Header=BB7_9 Depth=1
	s_or_b64 exec, exec, s[2:3]
	v_cmp_gt_u32_e32 vcc, s4, v9
	s_and_saveexec_b64 s[2:3], vcc
	s_cbranch_execnz .LBB7_108
.LBB7_98:                               ;   in Loop: Header=BB7_9 Depth=1
	s_or_b64 exec, exec, s[2:3]
	v_cmp_gt_u32_e32 vcc, s4, v10
	s_and_saveexec_b64 s[2:3], vcc
	s_cbranch_execnz .LBB7_109
.LBB7_99:                               ;   in Loop: Header=BB7_9 Depth=1
	s_or_b64 exec, exec, s[2:3]
	v_cmp_gt_u32_e32 vcc, s4, v11
	s_and_saveexec_b64 s[2:3], vcc
	s_cbranch_execnz .LBB7_110
.LBB7_100:                              ;   in Loop: Header=BB7_9 Depth=1
	s_or_b64 exec, exec, s[2:3]
	v_cmp_gt_u32_e32 vcc, s4, v12
	s_and_saveexec_b64 s[2:3], vcc
	s_cbranch_execnz .LBB7_111
.LBB7_101:                              ;   in Loop: Header=BB7_9 Depth=1
	s_or_b64 exec, exec, s[2:3]
	v_cmp_gt_u32_e32 vcc, s4, v13
	s_and_saveexec_b64 s[2:3], vcc
	s_cbranch_execnz .LBB7_112
.LBB7_102:                              ;   in Loop: Header=BB7_9 Depth=1
	s_or_b64 exec, exec, s[2:3]
	v_cmp_gt_u32_e32 vcc, s4, v14
	s_and_saveexec_b64 s[2:3], vcc
	s_cbranch_execnz .LBB7_113
.LBB7_103:                              ;   in Loop: Header=BB7_9 Depth=1
	s_or_b64 exec, exec, s[2:3]
	v_cmp_gt_u32_e32 vcc, s4, v15
	s_and_saveexec_b64 s[2:3], vcc
	s_cbranch_execz .LBB7_8
	s_branch .LBB7_114
.LBB7_104:                              ;   in Loop: Header=BB7_9 Depth=1
	global_store_short v[2:3], v24, off offset:6
	s_or_b64 exec, exec, s[2:3]
	v_cmp_gt_u32_e32 vcc, s4, v6
	s_and_saveexec_b64 s[2:3], vcc
	s_cbranch_execz .LBB7_95
.LBB7_105:                              ;   in Loop: Header=BB7_9 Depth=1
	global_store_short v[2:3], v25, off offset:8
	s_or_b64 exec, exec, s[2:3]
	v_cmp_gt_u32_e32 vcc, s4, v7
	s_and_saveexec_b64 s[2:3], vcc
	s_cbranch_execz .LBB7_96
.LBB7_106:                              ;   in Loop: Header=BB7_9 Depth=1
	global_store_short v[2:3], v26, off offset:10
	s_or_b64 exec, exec, s[2:3]
	v_cmp_gt_u32_e32 vcc, s4, v8
	s_and_saveexec_b64 s[2:3], vcc
	s_cbranch_execz .LBB7_97
.LBB7_107:                              ;   in Loop: Header=BB7_9 Depth=1
	global_store_short v[2:3], v27, off offset:12
	s_or_b64 exec, exec, s[2:3]
	v_cmp_gt_u32_e32 vcc, s4, v9
	s_and_saveexec_b64 s[2:3], vcc
	s_cbranch_execz .LBB7_98
.LBB7_108:                              ;   in Loop: Header=BB7_9 Depth=1
	global_store_short v[2:3], v28, off offset:14
	s_or_b64 exec, exec, s[2:3]
	v_cmp_gt_u32_e32 vcc, s4, v10
	s_and_saveexec_b64 s[2:3], vcc
	s_cbranch_execz .LBB7_99
.LBB7_109:                              ;   in Loop: Header=BB7_9 Depth=1
	global_store_short v[2:3], v29, off offset:16
	s_or_b64 exec, exec, s[2:3]
	v_cmp_gt_u32_e32 vcc, s4, v11
	s_and_saveexec_b64 s[2:3], vcc
	s_cbranch_execz .LBB7_100
.LBB7_110:                              ;   in Loop: Header=BB7_9 Depth=1
	global_store_short v[2:3], v30, off offset:18
	s_or_b64 exec, exec, s[2:3]
	v_cmp_gt_u32_e32 vcc, s4, v12
	s_and_saveexec_b64 s[2:3], vcc
	s_cbranch_execz .LBB7_101
.LBB7_111:                              ;   in Loop: Header=BB7_9 Depth=1
	global_store_short v[2:3], v32, off offset:20
	s_or_b64 exec, exec, s[2:3]
	v_cmp_gt_u32_e32 vcc, s4, v13
	s_and_saveexec_b64 s[2:3], vcc
	s_cbranch_execz .LBB7_102
.LBB7_112:                              ;   in Loop: Header=BB7_9 Depth=1
	global_store_short v[2:3], v33, off offset:22
	s_or_b64 exec, exec, s[2:3]
	v_cmp_gt_u32_e32 vcc, s4, v14
	s_and_saveexec_b64 s[2:3], vcc
	s_cbranch_execz .LBB7_103
.LBB7_113:                              ;   in Loop: Header=BB7_9 Depth=1
	global_store_short v[2:3], v34, off offset:24
	s_or_b64 exec, exec, s[2:3]
	v_cmp_gt_u32_e32 vcc, s4, v15
	s_and_saveexec_b64 s[2:3], vcc
	s_cbranch_execz .LBB7_8
.LBB7_114:                              ;   in Loop: Header=BB7_9 Depth=1
	s_waitcnt lgkmcnt(0)
	global_store_short v[2:3], v31, off offset:26
	s_branch .LBB7_8
.LBB7_115:
	s_endpgm
	.section	.rodata,"a",@progbits
	.p2align	6, 0x0
	.amdhsa_kernel _Z30block_run_length_decode_kernelI6__halfiLj256ELj1ELj14EEvPKT_PKT0_PS1_
		.amdhsa_group_segment_fixed_size 1536
		.amdhsa_private_segment_fixed_size 0
		.amdhsa_kernarg_size 24
		.amdhsa_user_sgpr_count 6
		.amdhsa_user_sgpr_private_segment_buffer 1
		.amdhsa_user_sgpr_dispatch_ptr 0
		.amdhsa_user_sgpr_queue_ptr 0
		.amdhsa_user_sgpr_kernarg_segment_ptr 1
		.amdhsa_user_sgpr_dispatch_id 0
		.amdhsa_user_sgpr_flat_scratch_init 0
		.amdhsa_user_sgpr_private_segment_size 0
		.amdhsa_uses_dynamic_stack 0
		.amdhsa_system_sgpr_private_segment_wavefront_offset 0
		.amdhsa_system_sgpr_workgroup_id_x 1
		.amdhsa_system_sgpr_workgroup_id_y 0
		.amdhsa_system_sgpr_workgroup_id_z 0
		.amdhsa_system_sgpr_workgroup_info 0
		.amdhsa_system_vgpr_workitem_id 0
		.amdhsa_next_free_vgpr 36
		.amdhsa_next_free_sgpr 9
		.amdhsa_reserve_vcc 1
		.amdhsa_reserve_flat_scratch 0
		.amdhsa_float_round_mode_32 0
		.amdhsa_float_round_mode_16_64 0
		.amdhsa_float_denorm_mode_32 3
		.amdhsa_float_denorm_mode_16_64 3
		.amdhsa_dx10_clamp 1
		.amdhsa_ieee_mode 1
		.amdhsa_fp16_overflow 0
		.amdhsa_exception_fp_ieee_invalid_op 0
		.amdhsa_exception_fp_denorm_src 0
		.amdhsa_exception_fp_ieee_div_zero 0
		.amdhsa_exception_fp_ieee_overflow 0
		.amdhsa_exception_fp_ieee_underflow 0
		.amdhsa_exception_fp_ieee_inexact 0
		.amdhsa_exception_int_div_zero 0
	.end_amdhsa_kernel
	.section	.text._Z30block_run_length_decode_kernelI6__halfiLj256ELj1ELj14EEvPKT_PKT0_PS1_,"axG",@progbits,_Z30block_run_length_decode_kernelI6__halfiLj256ELj1ELj14EEvPKT_PKT0_PS1_,comdat
.Lfunc_end7:
	.size	_Z30block_run_length_decode_kernelI6__halfiLj256ELj1ELj14EEvPKT_PKT0_PS1_, .Lfunc_end7-_Z30block_run_length_decode_kernelI6__halfiLj256ELj1ELj14EEvPKT_PKT0_PS1_
                                        ; -- End function
	.set _Z30block_run_length_decode_kernelI6__halfiLj256ELj1ELj14EEvPKT_PKT0_PS1_.num_vgpr, 36
	.set _Z30block_run_length_decode_kernelI6__halfiLj256ELj1ELj14EEvPKT_PKT0_PS1_.num_agpr, 0
	.set _Z30block_run_length_decode_kernelI6__halfiLj256ELj1ELj14EEvPKT_PKT0_PS1_.numbered_sgpr, 9
	.set _Z30block_run_length_decode_kernelI6__halfiLj256ELj1ELj14EEvPKT_PKT0_PS1_.num_named_barrier, 0
	.set _Z30block_run_length_decode_kernelI6__halfiLj256ELj1ELj14EEvPKT_PKT0_PS1_.private_seg_size, 0
	.set _Z30block_run_length_decode_kernelI6__halfiLj256ELj1ELj14EEvPKT_PKT0_PS1_.uses_vcc, 1
	.set _Z30block_run_length_decode_kernelI6__halfiLj256ELj1ELj14EEvPKT_PKT0_PS1_.uses_flat_scratch, 0
	.set _Z30block_run_length_decode_kernelI6__halfiLj256ELj1ELj14EEvPKT_PKT0_PS1_.has_dyn_sized_stack, 0
	.set _Z30block_run_length_decode_kernelI6__halfiLj256ELj1ELj14EEvPKT_PKT0_PS1_.has_recursion, 0
	.set _Z30block_run_length_decode_kernelI6__halfiLj256ELj1ELj14EEvPKT_PKT0_PS1_.has_indirect_call, 0
	.section	.AMDGPU.csdata,"",@progbits
; Kernel info:
; codeLenInByte = 3044
; TotalNumSgprs: 13
; NumVgprs: 36
; ScratchSize: 0
; MemoryBound: 0
; FloatMode: 240
; IeeeMode: 1
; LDSByteSize: 1536 bytes/workgroup (compile time only)
; SGPRBlocks: 1
; VGPRBlocks: 8
; NumSGPRsForWavesPerEU: 13
; NumVGPRsForWavesPerEU: 36
; Occupancy: 7
; WaveLimiterHint : 0
; COMPUTE_PGM_RSRC2:SCRATCH_EN: 0
; COMPUTE_PGM_RSRC2:USER_SGPR: 6
; COMPUTE_PGM_RSRC2:TRAP_HANDLER: 0
; COMPUTE_PGM_RSRC2:TGID_X_EN: 1
; COMPUTE_PGM_RSRC2:TGID_Y_EN: 0
; COMPUTE_PGM_RSRC2:TGID_Z_EN: 0
; COMPUTE_PGM_RSRC2:TIDIG_COMP_CNT: 0
	.section	.text._Z30block_run_length_decode_kernelIfiLj256ELj1ELj14EEvPKT_PKT0_PS0_,"axG",@progbits,_Z30block_run_length_decode_kernelIfiLj256ELj1ELj14EEvPKT_PKT0_PS0_,comdat
	.protected	_Z30block_run_length_decode_kernelIfiLj256ELj1ELj14EEvPKT_PKT0_PS0_ ; -- Begin function _Z30block_run_length_decode_kernelIfiLj256ELj1ELj14EEvPKT_PKT0_PS0_
	.globl	_Z30block_run_length_decode_kernelIfiLj256ELj1ELj14EEvPKT_PKT0_PS0_
	.p2align	8
	.type	_Z30block_run_length_decode_kernelIfiLj256ELj1ELj14EEvPKT_PKT0_PS0_,@function
_Z30block_run_length_decode_kernelIfiLj256ELj1ELj14EEvPKT_PKT0_PS0_: ; @_Z30block_run_length_decode_kernelIfiLj256ELj1ELj14EEvPKT_PKT0_PS0_
; %bb.0:
	s_load_dwordx4 s[0:3], s[4:5], 0x0
	v_lshl_or_b32 v1, s6, 8, v0
	v_mov_b32_e32 v2, 0
	v_lshlrev_b64 v[2:3], 2, v[1:2]
	v_or_b32_e32 v6, 63, v0
	s_waitcnt lgkmcnt(0)
	v_mov_b32_e32 v5, s3
	v_add_co_u32_e32 v4, vcc, s2, v2
	v_addc_co_u32_e32 v5, vcc, v5, v3, vcc
	global_load_dword v5, v[4:5], off
	v_mov_b32_e32 v4, s1
	v_add_co_u32_e32 v2, vcc, s0, v2
	v_addc_co_u32_e32 v3, vcc, v4, v3, vcc
	global_load_dword v2, v[2:3], off
	v_mbcnt_lo_u32_b32 v3, -1, 0
	v_mbcnt_hi_u32_b32 v3, -1, v3
	v_and_b32_e32 v7, 15, v3
	v_cmp_ne_u32_e32 vcc, 0, v7
	v_bfe_i32 v8, v3, 4, 1
	v_lshrrev_b32_e32 v4, 6, v0
	s_waitcnt vmcnt(1)
	v_mov_b32_dpp v9, v5 row_shr:1 row_mask:0xf bank_mask:0xf
	v_cndmask_b32_e32 v9, 0, v9, vcc
	v_add_u32_e32 v5, v9, v5
	v_cmp_lt_u32_e32 vcc, 1, v7
	s_nop 0
	v_mov_b32_dpp v9, v5 row_shr:2 row_mask:0xf bank_mask:0xf
	v_cndmask_b32_e32 v9, 0, v9, vcc
	v_add_u32_e32 v5, v5, v9
	v_cmp_lt_u32_e32 vcc, 3, v7
	s_nop 0
	v_mov_b32_dpp v9, v5 row_shr:4 row_mask:0xf bank_mask:0xf
	v_cndmask_b32_e32 v9, 0, v9, vcc
	v_add_u32_e32 v5, v5, v9
	v_cmp_lt_u32_e32 vcc, 7, v7
	s_nop 0
	v_mov_b32_dpp v9, v5 row_shr:8 row_mask:0xf bank_mask:0xf
	v_cndmask_b32_e32 v7, 0, v9, vcc
	v_add_u32_e32 v5, v5, v7
	v_cmp_lt_u32_e32 vcc, 31, v3
	s_nop 0
	v_mov_b32_dpp v7, v5 row_bcast:15 row_mask:0xf bank_mask:0xf
	v_and_b32_e32 v7, v8, v7
	v_add_u32_e32 v5, v5, v7
	s_nop 1
	v_mov_b32_dpp v7, v5 row_bcast:31 row_mask:0xf bank_mask:0xf
	v_cndmask_b32_e32 v7, 0, v7, vcc
	v_add_u32_e32 v5, v5, v7
	v_cmp_eq_u32_e32 vcc, v0, v6
	s_and_saveexec_b64 s[0:1], vcc
; %bb.1:
	v_lshlrev_b32_e32 v6, 2, v4
	ds_write_b32 v6, v5
; %bb.2:
	s_or_b64 exec, exec, s[0:1]
	v_cmp_gt_u32_e32 vcc, 4, v0
	v_lshlrev_b32_e32 v6, 2, v0
	s_waitcnt vmcnt(0) lgkmcnt(0)
	s_barrier
	s_and_saveexec_b64 s[0:1], vcc
	s_cbranch_execz .LBB8_4
; %bb.3:
	ds_read_b32 v7, v6
	v_and_b32_e32 v8, 3, v3
	v_cmp_ne_u32_e32 vcc, 0, v8
	s_waitcnt lgkmcnt(0)
	v_mov_b32_dpp v9, v7 row_shr:1 row_mask:0xf bank_mask:0xf
	v_cndmask_b32_e32 v9, 0, v9, vcc
	v_add_u32_e32 v7, v9, v7
	v_cmp_lt_u32_e32 vcc, 1, v8
	s_nop 0
	v_mov_b32_dpp v9, v7 row_shr:2 row_mask:0xf bank_mask:0xf
	v_cndmask_b32_e32 v8, 0, v9, vcc
	v_add_u32_e32 v7, v7, v8
	ds_write_b32 v6, v7
.LBB8_4:
	s_or_b64 exec, exec, s[0:1]
	v_cmp_lt_u32_e32 vcc, 63, v0
	v_mov_b32_e32 v7, 0
	v_mov_b32_e32 v8, 0
	s_waitcnt lgkmcnt(0)
	s_barrier
	s_and_saveexec_b64 s[0:1], vcc
; %bb.5:
	v_lshl_add_u32 v4, v4, 2, -4
	ds_read_b32 v8, v4
; %bb.6:
	s_or_b64 exec, exec, s[0:1]
	s_waitcnt lgkmcnt(0)
	v_add_u32_e32 v4, v8, v5
	v_subrev_co_u32_e32 v5, vcc, 1, v3
	v_and_b32_e32 v9, 64, v3
	v_cmp_lt_i32_e64 s[0:1], v5, v9
	v_cndmask_b32_e64 v3, v5, v3, s[0:1]
	v_lshlrev_b32_e32 v3, 2, v3
	ds_bpermute_b32 v3, v3, v4
	ds_read_b32 v4, v7 offset:12
	s_mov_b32 s1, 0
	s_waitcnt lgkmcnt(0)
	s_barrier
	v_cndmask_b32_e32 v3, v3, v8, vcc
	v_cmp_eq_u32_e32 vcc, 0, v4
	v_readfirstlane_b32 s6, v4
	ds_write2st64_b32 v6, v2, v3 offset1:4
	s_waitcnt lgkmcnt(0)
	s_barrier
	s_cbranch_vccnz .LBB8_115
; %bb.7:
	v_mul_lo_u32 v1, v1, 14
	s_load_dwordx2 s[2:3], s[4:5], 0x10
	v_mov_b32_e32 v2, 0
	ds_read_b32 v4, v2 offset:1536
	v_lshlrev_b64 v[2:3], 2, v[1:2]
	v_mul_u32_u24_e32 v0, 14, v0
	s_waitcnt lgkmcnt(0)
	v_mov_b32_e32 v6, s3
	v_add_co_u32_e32 v5, vcc, s2, v2
	v_addc_co_u32_e32 v6, vcc, v6, v3, vcc
	v_add_u32_e32 v7, 4, v1
	v_add_u32_e32 v8, 5, v1
	;; [unrolled: 1-line block ×10, first 2 shown]
	v_mov_b32_e32 v17, 0x81
	s_movk_i32 s7, 0xff
	s_mov_b32 s8, s6
	s_mov_b32 s0, s1
	v_mov_b32_e32 v18, 0x100
	v_mov_b32_e32 v19, 0x80
	;; [unrolled: 1-line block ×3, first 2 shown]
	s_branch .LBB8_9
.LBB8_8:                                ;   in Loop: Header=BB8_9 Depth=1
	s_or_b64 exec, exec, s[2:3]
	s_addk_i32 s0, 0xe00
	s_addk_i32 s8, 0xf200
	s_cmp_lt_u32 s0, s6
	s_cbranch_scc0 .LBB8_115
.LBB8_9:                                ; =>This Inner Loop Header: Depth=1
	v_add_u32_e32 v2, s0, v0
	v_cmp_lt_u32_e32 vcc, v2, v4
	v_cndmask_b32_e64 v21, v20, 64, vcc
	v_lshlrev_b32_e32 v22, 2, v21
	ds_read_b32 v22, v22 offset:1024
	v_cndmask_b32_e64 v3, v17, 0, vcc
	v_cndmask_b32_e32 v23, v18, v19, vcc
	v_or_b32_e32 v24, 1, v21
	s_waitcnt lgkmcnt(0)
	v_cmp_lt_u32_e32 vcc, v2, v22
	v_cndmask_b32_e32 v3, v24, v3, vcc
	v_cndmask_b32_e32 v21, v23, v21, vcc
	v_sub_u32_e32 v22, v21, v3
	v_lshrrev_b16_e32 v23, 15, v22
	v_add_u16_e32 v22, v22, v23
	v_ashrrev_i16_e32 v22, 1, v22
	v_add_u32_sdwa v22, v3, sext(v22) dst_sel:DWORD dst_unused:UNUSED_PAD src0_sel:DWORD src1_sel:WORD_0
	v_min_i32_e32 v22, 0xff, v22
	v_lshlrev_b32_e32 v23, 2, v22
	ds_read_b32 v23, v23 offset:1024
	v_add_u32_e32 v24, 1, v22
	s_waitcnt lgkmcnt(0)
	v_cmp_lt_u32_e32 vcc, v2, v23
	v_cndmask_b32_e32 v3, v24, v3, vcc
	v_cndmask_b32_e32 v21, v21, v22, vcc
	v_sub_u32_e32 v22, v21, v3
	v_lshrrev_b16_e32 v23, 15, v22
	v_add_u16_e32 v22, v22, v23
	v_ashrrev_i16_e32 v22, 1, v22
	v_add_u32_sdwa v22, v3, sext(v22) dst_sel:DWORD dst_unused:UNUSED_PAD src0_sel:DWORD src1_sel:WORD_0
	v_min_i32_e32 v22, 0xff, v22
	v_lshlrev_b32_e32 v23, 2, v22
	ds_read_b32 v23, v23 offset:1024
	v_add_u32_e32 v24, 1, v22
	;; [unrolled: 13-line block ×7, first 2 shown]
	s_waitcnt lgkmcnt(0)
	v_cmp_lt_u32_e32 vcc, v2, v22
	v_cndmask_b32_e32 v23, v21, v3, vcc
	v_add_u32_e32 v3, -1, v23
	v_cmp_ne_u32_e32 vcc, s7, v3
                                        ; implicit-def: $vgpr22
	s_and_saveexec_b64 s[2:3], vcc
	s_xor_b64 s[2:3], exec, s[2:3]
; %bb.10:                               ;   in Loop: Header=BB8_9 Depth=1
	v_lshlrev_b32_e32 v21, 2, v23
	ds_read_b32 v22, v21 offset:1024
; %bb.11:                               ;   in Loop: Header=BB8_9 Depth=1
	s_andn2_saveexec_b64 s[2:3], s[2:3]
	s_cbranch_execz .LBB8_13
; %bb.12:                               ;   in Loop: Header=BB8_9 Depth=1
	s_waitcnt lgkmcnt(0)
	v_add_u32_e32 v22, 14, v2
.LBB8_13:                               ;   in Loop: Header=BB8_9 Depth=1
	s_or_b64 exec, exec, s[2:3]
	v_lshlrev_b32_e32 v21, 2, v3
	ds_read_b32 v21, v21
	s_waitcnt lgkmcnt(1)
	v_add_u32_e32 v31, -1, v22
	v_cmp_eq_u32_e32 vcc, v2, v31
	s_waitcnt lgkmcnt(0)
	v_mov_b32_e32 v22, v21
	s_and_saveexec_b64 s[2:3], vcc
	s_cbranch_execz .LBB8_19
; %bb.14:                               ;   in Loop: Header=BB8_9 Depth=1
	v_cmp_ne_u32_e32 vcc, s7, v23
	v_lshlrev_b32_e32 v3, 2, v23
                                        ; implicit-def: $vgpr24
	s_and_saveexec_b64 s[4:5], vcc
	s_xor_b64 s[4:5], exec, s[4:5]
; %bb.15:                               ;   in Loop: Header=BB8_9 Depth=1
	ds_read_b32 v24, v3 offset:1028
; %bb.16:                               ;   in Loop: Header=BB8_9 Depth=1
	s_andn2_saveexec_b64 s[4:5], s[4:5]
	s_cbranch_execz .LBB8_18
; %bb.17:                               ;   in Loop: Header=BB8_9 Depth=1
	s_waitcnt lgkmcnt(0)
	v_add_u32_e32 v24, 14, v2
.LBB8_18:                               ;   in Loop: Header=BB8_9 Depth=1
	s_or_b64 exec, exec, s[4:5]
	ds_read_b32 v22, v3
	s_waitcnt lgkmcnt(1)
	v_add_u32_e32 v31, -1, v24
	v_mov_b32_e32 v3, v23
.LBB8_19:                               ;   in Loop: Header=BB8_9 Depth=1
	s_or_b64 exec, exec, s[2:3]
	v_add_u32_e32 v23, 1, v2
	v_cmp_eq_u32_e32 vcc, v23, v31
	s_waitcnt lgkmcnt(0)
	v_mov_b32_e32 v23, v22
	s_and_saveexec_b64 s[2:3], vcc
	s_cbranch_execz .LBB8_25
; %bb.20:                               ;   in Loop: Header=BB8_9 Depth=1
	v_add_u32_e32 v24, 1, v3
	v_cmp_ne_u32_e32 vcc, s7, v24
	v_lshlrev_b32_e32 v3, 2, v3
                                        ; implicit-def: $vgpr25
	s_and_saveexec_b64 s[4:5], vcc
	s_xor_b64 s[4:5], exec, s[4:5]
; %bb.21:                               ;   in Loop: Header=BB8_9 Depth=1
	ds_read_b32 v25, v3 offset:1032
; %bb.22:                               ;   in Loop: Header=BB8_9 Depth=1
	s_andn2_saveexec_b64 s[4:5], s[4:5]
	s_cbranch_execz .LBB8_24
; %bb.23:                               ;   in Loop: Header=BB8_9 Depth=1
	s_waitcnt lgkmcnt(0)
	v_add_u32_e32 v25, 15, v2
.LBB8_24:                               ;   in Loop: Header=BB8_9 Depth=1
	s_or_b64 exec, exec, s[4:5]
	ds_read_b32 v23, v3 offset:4
	s_waitcnt lgkmcnt(1)
	v_add_u32_e32 v31, -1, v25
	v_mov_b32_e32 v3, v24
.LBB8_25:                               ;   in Loop: Header=BB8_9 Depth=1
	s_or_b64 exec, exec, s[2:3]
	v_add_u32_e32 v24, 2, v2
	v_cmp_eq_u32_e32 vcc, v24, v31
	s_waitcnt lgkmcnt(0)
	v_mov_b32_e32 v24, v23
	s_and_saveexec_b64 s[2:3], vcc
	s_cbranch_execz .LBB8_31
; %bb.26:                               ;   in Loop: Header=BB8_9 Depth=1
	v_add_u32_e32 v25, 1, v3
	v_cmp_ne_u32_e32 vcc, s7, v25
	v_lshlrev_b32_e32 v3, 2, v3
                                        ; implicit-def: $vgpr26
	s_and_saveexec_b64 s[4:5], vcc
	s_xor_b64 s[4:5], exec, s[4:5]
; %bb.27:                               ;   in Loop: Header=BB8_9 Depth=1
	ds_read_b32 v26, v3 offset:1032
; %bb.28:                               ;   in Loop: Header=BB8_9 Depth=1
	s_andn2_saveexec_b64 s[4:5], s[4:5]
	s_cbranch_execz .LBB8_30
; %bb.29:                               ;   in Loop: Header=BB8_9 Depth=1
	s_waitcnt lgkmcnt(0)
	v_add_u32_e32 v26, 16, v2
.LBB8_30:                               ;   in Loop: Header=BB8_9 Depth=1
	s_or_b64 exec, exec, s[4:5]
	ds_read_b32 v24, v3 offset:4
	s_waitcnt lgkmcnt(1)
	v_add_u32_e32 v31, -1, v26
	v_mov_b32_e32 v3, v25
.LBB8_31:                               ;   in Loop: Header=BB8_9 Depth=1
	s_or_b64 exec, exec, s[2:3]
	v_add_u32_e32 v25, 3, v2
	v_cmp_eq_u32_e32 vcc, v25, v31
	s_waitcnt lgkmcnt(0)
	v_mov_b32_e32 v25, v24
	s_and_saveexec_b64 s[2:3], vcc
	s_cbranch_execz .LBB8_37
; %bb.32:                               ;   in Loop: Header=BB8_9 Depth=1
	v_add_u32_e32 v26, 1, v3
	v_cmp_ne_u32_e32 vcc, s7, v26
	v_lshlrev_b32_e32 v3, 2, v3
                                        ; implicit-def: $vgpr27
	s_and_saveexec_b64 s[4:5], vcc
	s_xor_b64 s[4:5], exec, s[4:5]
; %bb.33:                               ;   in Loop: Header=BB8_9 Depth=1
	ds_read_b32 v27, v3 offset:1032
; %bb.34:                               ;   in Loop: Header=BB8_9 Depth=1
	s_andn2_saveexec_b64 s[4:5], s[4:5]
	s_cbranch_execz .LBB8_36
; %bb.35:                               ;   in Loop: Header=BB8_9 Depth=1
	s_waitcnt lgkmcnt(0)
	v_add_u32_e32 v27, 17, v2
.LBB8_36:                               ;   in Loop: Header=BB8_9 Depth=1
	s_or_b64 exec, exec, s[4:5]
	ds_read_b32 v25, v3 offset:4
	s_waitcnt lgkmcnt(1)
	v_add_u32_e32 v31, -1, v27
	v_mov_b32_e32 v3, v26
.LBB8_37:                               ;   in Loop: Header=BB8_9 Depth=1
	s_or_b64 exec, exec, s[2:3]
	v_add_u32_e32 v26, 4, v2
	v_cmp_eq_u32_e32 vcc, v26, v31
	s_waitcnt lgkmcnt(0)
	v_mov_b32_e32 v26, v25
	s_and_saveexec_b64 s[2:3], vcc
	s_cbranch_execz .LBB8_43
; %bb.38:                               ;   in Loop: Header=BB8_9 Depth=1
	v_add_u32_e32 v27, 1, v3
	v_cmp_ne_u32_e32 vcc, s7, v27
	v_lshlrev_b32_e32 v3, 2, v3
                                        ; implicit-def: $vgpr28
	s_and_saveexec_b64 s[4:5], vcc
	s_xor_b64 s[4:5], exec, s[4:5]
; %bb.39:                               ;   in Loop: Header=BB8_9 Depth=1
	ds_read_b32 v28, v3 offset:1032
; %bb.40:                               ;   in Loop: Header=BB8_9 Depth=1
	s_andn2_saveexec_b64 s[4:5], s[4:5]
	s_cbranch_execz .LBB8_42
; %bb.41:                               ;   in Loop: Header=BB8_9 Depth=1
	s_waitcnt lgkmcnt(0)
	v_add_u32_e32 v28, 18, v2
.LBB8_42:                               ;   in Loop: Header=BB8_9 Depth=1
	s_or_b64 exec, exec, s[4:5]
	ds_read_b32 v26, v3 offset:4
	s_waitcnt lgkmcnt(1)
	v_add_u32_e32 v31, -1, v28
	v_mov_b32_e32 v3, v27
.LBB8_43:                               ;   in Loop: Header=BB8_9 Depth=1
	s_or_b64 exec, exec, s[2:3]
	v_add_u32_e32 v27, 5, v2
	v_cmp_eq_u32_e32 vcc, v27, v31
	s_waitcnt lgkmcnt(0)
	v_mov_b32_e32 v27, v26
	s_and_saveexec_b64 s[2:3], vcc
	s_cbranch_execz .LBB8_49
; %bb.44:                               ;   in Loop: Header=BB8_9 Depth=1
	v_add_u32_e32 v28, 1, v3
	v_cmp_ne_u32_e32 vcc, s7, v28
	v_lshlrev_b32_e32 v3, 2, v3
                                        ; implicit-def: $vgpr29
	s_and_saveexec_b64 s[4:5], vcc
	s_xor_b64 s[4:5], exec, s[4:5]
; %bb.45:                               ;   in Loop: Header=BB8_9 Depth=1
	ds_read_b32 v29, v3 offset:1032
; %bb.46:                               ;   in Loop: Header=BB8_9 Depth=1
	s_andn2_saveexec_b64 s[4:5], s[4:5]
	s_cbranch_execz .LBB8_48
; %bb.47:                               ;   in Loop: Header=BB8_9 Depth=1
	s_waitcnt lgkmcnt(0)
	v_add_u32_e32 v29, 19, v2
.LBB8_48:                               ;   in Loop: Header=BB8_9 Depth=1
	s_or_b64 exec, exec, s[4:5]
	ds_read_b32 v27, v3 offset:4
	s_waitcnt lgkmcnt(1)
	v_add_u32_e32 v31, -1, v29
	v_mov_b32_e32 v3, v28
.LBB8_49:                               ;   in Loop: Header=BB8_9 Depth=1
	s_or_b64 exec, exec, s[2:3]
	v_add_u32_e32 v28, 6, v2
	v_cmp_eq_u32_e32 vcc, v28, v31
	s_waitcnt lgkmcnt(0)
	v_mov_b32_e32 v28, v27
	s_and_saveexec_b64 s[2:3], vcc
	s_cbranch_execz .LBB8_55
; %bb.50:                               ;   in Loop: Header=BB8_9 Depth=1
	v_add_u32_e32 v29, 1, v3
	v_cmp_ne_u32_e32 vcc, s7, v29
	v_lshlrev_b32_e32 v3, 2, v3
                                        ; implicit-def: $vgpr30
	s_and_saveexec_b64 s[4:5], vcc
	s_xor_b64 s[4:5], exec, s[4:5]
; %bb.51:                               ;   in Loop: Header=BB8_9 Depth=1
	ds_read_b32 v30, v3 offset:1032
; %bb.52:                               ;   in Loop: Header=BB8_9 Depth=1
	s_andn2_saveexec_b64 s[4:5], s[4:5]
	s_cbranch_execz .LBB8_54
; %bb.53:                               ;   in Loop: Header=BB8_9 Depth=1
	s_waitcnt lgkmcnt(0)
	v_add_u32_e32 v30, 20, v2
.LBB8_54:                               ;   in Loop: Header=BB8_9 Depth=1
	s_or_b64 exec, exec, s[4:5]
	ds_read_b32 v28, v3 offset:4
	s_waitcnt lgkmcnt(1)
	v_add_u32_e32 v31, -1, v30
	v_mov_b32_e32 v3, v29
.LBB8_55:                               ;   in Loop: Header=BB8_9 Depth=1
	s_or_b64 exec, exec, s[2:3]
	v_add_u32_e32 v29, 7, v2
	v_cmp_eq_u32_e32 vcc, v29, v31
	s_waitcnt lgkmcnt(0)
	v_mov_b32_e32 v29, v28
	s_and_saveexec_b64 s[2:3], vcc
	s_cbranch_execz .LBB8_61
; %bb.56:                               ;   in Loop: Header=BB8_9 Depth=1
	v_add_u32_e32 v30, 1, v3
	v_cmp_ne_u32_e32 vcc, s7, v30
	v_lshlrev_b32_e32 v3, 2, v3
                                        ; implicit-def: $vgpr31
	s_and_saveexec_b64 s[4:5], vcc
	s_xor_b64 s[4:5], exec, s[4:5]
; %bb.57:                               ;   in Loop: Header=BB8_9 Depth=1
	ds_read_b32 v31, v3 offset:1032
; %bb.58:                               ;   in Loop: Header=BB8_9 Depth=1
	s_andn2_saveexec_b64 s[4:5], s[4:5]
	s_cbranch_execz .LBB8_60
; %bb.59:                               ;   in Loop: Header=BB8_9 Depth=1
	s_waitcnt lgkmcnt(0)
	v_add_u32_e32 v31, 21, v2
.LBB8_60:                               ;   in Loop: Header=BB8_9 Depth=1
	s_or_b64 exec, exec, s[4:5]
	ds_read_b32 v29, v3 offset:4
	s_waitcnt lgkmcnt(1)
	v_add_u32_e32 v31, -1, v31
	v_mov_b32_e32 v3, v30
.LBB8_61:                               ;   in Loop: Header=BB8_9 Depth=1
	s_or_b64 exec, exec, s[2:3]
	v_add_u32_e32 v30, 8, v2
	v_cmp_eq_u32_e32 vcc, v30, v31
	s_waitcnt lgkmcnt(0)
	v_mov_b32_e32 v30, v29
	s_and_saveexec_b64 s[2:3], vcc
	s_cbranch_execz .LBB8_67
; %bb.62:                               ;   in Loop: Header=BB8_9 Depth=1
	v_add_u32_e32 v32, 1, v3
	v_cmp_ne_u32_e32 vcc, s7, v32
	v_lshlrev_b32_e32 v3, 2, v3
                                        ; implicit-def: $vgpr31
	s_and_saveexec_b64 s[4:5], vcc
	s_xor_b64 s[4:5], exec, s[4:5]
; %bb.63:                               ;   in Loop: Header=BB8_9 Depth=1
	ds_read_b32 v31, v3 offset:1032
; %bb.64:                               ;   in Loop: Header=BB8_9 Depth=1
	s_andn2_saveexec_b64 s[4:5], s[4:5]
	s_cbranch_execz .LBB8_66
; %bb.65:                               ;   in Loop: Header=BB8_9 Depth=1
	s_waitcnt lgkmcnt(0)
	v_add_u32_e32 v31, 22, v2
.LBB8_66:                               ;   in Loop: Header=BB8_9 Depth=1
	s_or_b64 exec, exec, s[4:5]
	ds_read_b32 v30, v3 offset:4
	s_waitcnt lgkmcnt(1)
	v_add_u32_e32 v31, -1, v31
	v_mov_b32_e32 v3, v32
.LBB8_67:                               ;   in Loop: Header=BB8_9 Depth=1
	;; [unrolled: 29-line block ×5, first 2 shown]
	s_or_b64 exec, exec, s[2:3]
	v_add_u32_e32 v2, 12, v2
	v_cmp_eq_u32_e32 vcc, v2, v31
	s_waitcnt lgkmcnt(0)
	v_mov_b32_e32 v31, v34
	s_and_saveexec_b64 s[2:3], vcc
; %bb.86:                               ;   in Loop: Header=BB8_9 Depth=1
	v_lshlrev_b32_e32 v2, 2, v3
	ds_read_b32 v31, v2 offset:4
; %bb.87:                               ;   in Loop: Header=BB8_9 Depth=1
	s_or_b64 exec, exec, s[2:3]
	s_lshl_b64 s[2:3], s[0:1], 2
	v_mov_b32_e32 v3, s3
	v_add_co_u32_e32 v2, vcc, s2, v5
	s_min_u32 s4, s8, 0xe00
	v_addc_co_u32_e32 v3, vcc, v6, v3, vcc
	v_cmp_gt_u32_e32 vcc, s4, v1
	s_and_saveexec_b64 s[2:3], vcc
	s_cbranch_execz .LBB8_89
; %bb.88:                               ;   in Loop: Header=BB8_9 Depth=1
	global_store_dword v[2:3], v21, off
.LBB8_89:                               ;   in Loop: Header=BB8_9 Depth=1
	s_or_b64 exec, exec, s[2:3]
	v_or_b32_e32 v21, 1, v1
	v_cmp_gt_u32_e32 vcc, s4, v21
	s_and_saveexec_b64 s[2:3], vcc
	s_cbranch_execz .LBB8_91
; %bb.90:                               ;   in Loop: Header=BB8_9 Depth=1
	global_store_dword v[2:3], v22, off offset:4
.LBB8_91:                               ;   in Loop: Header=BB8_9 Depth=1
	s_or_b64 exec, exec, s[2:3]
	v_add_u32_e32 v21, 2, v1
	v_cmp_gt_u32_e32 vcc, s4, v21
	s_and_saveexec_b64 s[2:3], vcc
	s_cbranch_execz .LBB8_93
; %bb.92:                               ;   in Loop: Header=BB8_9 Depth=1
	global_store_dword v[2:3], v23, off offset:8
.LBB8_93:                               ;   in Loop: Header=BB8_9 Depth=1
	s_or_b64 exec, exec, s[2:3]
	v_add_u32_e32 v21, 3, v1
	v_cmp_gt_u32_e32 vcc, s4, v21
	s_and_saveexec_b64 s[2:3], vcc
	s_cbranch_execnz .LBB8_104
; %bb.94:                               ;   in Loop: Header=BB8_9 Depth=1
	s_or_b64 exec, exec, s[2:3]
	v_cmp_gt_u32_e32 vcc, s4, v7
	s_and_saveexec_b64 s[2:3], vcc
	s_cbranch_execnz .LBB8_105
.LBB8_95:                               ;   in Loop: Header=BB8_9 Depth=1
	s_or_b64 exec, exec, s[2:3]
	v_cmp_gt_u32_e32 vcc, s4, v8
	s_and_saveexec_b64 s[2:3], vcc
	s_cbranch_execnz .LBB8_106
.LBB8_96:                               ;   in Loop: Header=BB8_9 Depth=1
	s_or_b64 exec, exec, s[2:3]
	v_cmp_gt_u32_e32 vcc, s4, v9
	s_and_saveexec_b64 s[2:3], vcc
	s_cbranch_execnz .LBB8_107
.LBB8_97:                               ;   in Loop: Header=BB8_9 Depth=1
	s_or_b64 exec, exec, s[2:3]
	v_cmp_gt_u32_e32 vcc, s4, v10
	s_and_saveexec_b64 s[2:3], vcc
	s_cbranch_execnz .LBB8_108
.LBB8_98:                               ;   in Loop: Header=BB8_9 Depth=1
	s_or_b64 exec, exec, s[2:3]
	v_cmp_gt_u32_e32 vcc, s4, v11
	s_and_saveexec_b64 s[2:3], vcc
	s_cbranch_execnz .LBB8_109
.LBB8_99:                               ;   in Loop: Header=BB8_9 Depth=1
	s_or_b64 exec, exec, s[2:3]
	v_cmp_gt_u32_e32 vcc, s4, v12
	s_and_saveexec_b64 s[2:3], vcc
	s_cbranch_execnz .LBB8_110
.LBB8_100:                              ;   in Loop: Header=BB8_9 Depth=1
	s_or_b64 exec, exec, s[2:3]
	v_cmp_gt_u32_e32 vcc, s4, v13
	s_and_saveexec_b64 s[2:3], vcc
	s_cbranch_execnz .LBB8_111
.LBB8_101:                              ;   in Loop: Header=BB8_9 Depth=1
	s_or_b64 exec, exec, s[2:3]
	v_cmp_gt_u32_e32 vcc, s4, v14
	s_and_saveexec_b64 s[2:3], vcc
	s_cbranch_execnz .LBB8_112
.LBB8_102:                              ;   in Loop: Header=BB8_9 Depth=1
	s_or_b64 exec, exec, s[2:3]
	v_cmp_gt_u32_e32 vcc, s4, v15
	s_and_saveexec_b64 s[2:3], vcc
	s_cbranch_execnz .LBB8_113
.LBB8_103:                              ;   in Loop: Header=BB8_9 Depth=1
	s_or_b64 exec, exec, s[2:3]
	v_cmp_gt_u32_e32 vcc, s4, v16
	s_and_saveexec_b64 s[2:3], vcc
	s_cbranch_execz .LBB8_8
	s_branch .LBB8_114
.LBB8_104:                              ;   in Loop: Header=BB8_9 Depth=1
	global_store_dword v[2:3], v24, off offset:12
	s_or_b64 exec, exec, s[2:3]
	v_cmp_gt_u32_e32 vcc, s4, v7
	s_and_saveexec_b64 s[2:3], vcc
	s_cbranch_execz .LBB8_95
.LBB8_105:                              ;   in Loop: Header=BB8_9 Depth=1
	global_store_dword v[2:3], v25, off offset:16
	s_or_b64 exec, exec, s[2:3]
	v_cmp_gt_u32_e32 vcc, s4, v8
	s_and_saveexec_b64 s[2:3], vcc
	s_cbranch_execz .LBB8_96
.LBB8_106:                              ;   in Loop: Header=BB8_9 Depth=1
	global_store_dword v[2:3], v26, off offset:20
	s_or_b64 exec, exec, s[2:3]
	v_cmp_gt_u32_e32 vcc, s4, v9
	s_and_saveexec_b64 s[2:3], vcc
	s_cbranch_execz .LBB8_97
.LBB8_107:                              ;   in Loop: Header=BB8_9 Depth=1
	global_store_dword v[2:3], v27, off offset:24
	s_or_b64 exec, exec, s[2:3]
	v_cmp_gt_u32_e32 vcc, s4, v10
	s_and_saveexec_b64 s[2:3], vcc
	s_cbranch_execz .LBB8_98
.LBB8_108:                              ;   in Loop: Header=BB8_9 Depth=1
	global_store_dword v[2:3], v28, off offset:28
	s_or_b64 exec, exec, s[2:3]
	v_cmp_gt_u32_e32 vcc, s4, v11
	s_and_saveexec_b64 s[2:3], vcc
	s_cbranch_execz .LBB8_99
.LBB8_109:                              ;   in Loop: Header=BB8_9 Depth=1
	global_store_dword v[2:3], v29, off offset:32
	s_or_b64 exec, exec, s[2:3]
	v_cmp_gt_u32_e32 vcc, s4, v12
	s_and_saveexec_b64 s[2:3], vcc
	s_cbranch_execz .LBB8_100
.LBB8_110:                              ;   in Loop: Header=BB8_9 Depth=1
	global_store_dword v[2:3], v30, off offset:36
	s_or_b64 exec, exec, s[2:3]
	v_cmp_gt_u32_e32 vcc, s4, v13
	s_and_saveexec_b64 s[2:3], vcc
	s_cbranch_execz .LBB8_101
.LBB8_111:                              ;   in Loop: Header=BB8_9 Depth=1
	global_store_dword v[2:3], v32, off offset:40
	s_or_b64 exec, exec, s[2:3]
	v_cmp_gt_u32_e32 vcc, s4, v14
	s_and_saveexec_b64 s[2:3], vcc
	s_cbranch_execz .LBB8_102
.LBB8_112:                              ;   in Loop: Header=BB8_9 Depth=1
	global_store_dword v[2:3], v33, off offset:44
	s_or_b64 exec, exec, s[2:3]
	v_cmp_gt_u32_e32 vcc, s4, v15
	s_and_saveexec_b64 s[2:3], vcc
	s_cbranch_execz .LBB8_103
.LBB8_113:                              ;   in Loop: Header=BB8_9 Depth=1
	global_store_dword v[2:3], v34, off offset:48
	s_or_b64 exec, exec, s[2:3]
	v_cmp_gt_u32_e32 vcc, s4, v16
	s_and_saveexec_b64 s[2:3], vcc
	s_cbranch_execz .LBB8_8
.LBB8_114:                              ;   in Loop: Header=BB8_9 Depth=1
	s_waitcnt lgkmcnt(0)
	global_store_dword v[2:3], v31, off offset:52
	s_branch .LBB8_8
.LBB8_115:
	s_endpgm
	.section	.rodata,"a",@progbits
	.p2align	6, 0x0
	.amdhsa_kernel _Z30block_run_length_decode_kernelIfiLj256ELj1ELj14EEvPKT_PKT0_PS0_
		.amdhsa_group_segment_fixed_size 2048
		.amdhsa_private_segment_fixed_size 0
		.amdhsa_kernarg_size 24
		.amdhsa_user_sgpr_count 6
		.amdhsa_user_sgpr_private_segment_buffer 1
		.amdhsa_user_sgpr_dispatch_ptr 0
		.amdhsa_user_sgpr_queue_ptr 0
		.amdhsa_user_sgpr_kernarg_segment_ptr 1
		.amdhsa_user_sgpr_dispatch_id 0
		.amdhsa_user_sgpr_flat_scratch_init 0
		.amdhsa_user_sgpr_private_segment_size 0
		.amdhsa_uses_dynamic_stack 0
		.amdhsa_system_sgpr_private_segment_wavefront_offset 0
		.amdhsa_system_sgpr_workgroup_id_x 1
		.amdhsa_system_sgpr_workgroup_id_y 0
		.amdhsa_system_sgpr_workgroup_id_z 0
		.amdhsa_system_sgpr_workgroup_info 0
		.amdhsa_system_vgpr_workitem_id 0
		.amdhsa_next_free_vgpr 36
		.amdhsa_next_free_sgpr 9
		.amdhsa_reserve_vcc 1
		.amdhsa_reserve_flat_scratch 0
		.amdhsa_float_round_mode_32 0
		.amdhsa_float_round_mode_16_64 0
		.amdhsa_float_denorm_mode_32 3
		.amdhsa_float_denorm_mode_16_64 3
		.amdhsa_dx10_clamp 1
		.amdhsa_ieee_mode 1
		.amdhsa_fp16_overflow 0
		.amdhsa_exception_fp_ieee_invalid_op 0
		.amdhsa_exception_fp_denorm_src 0
		.amdhsa_exception_fp_ieee_div_zero 0
		.amdhsa_exception_fp_ieee_overflow 0
		.amdhsa_exception_fp_ieee_underflow 0
		.amdhsa_exception_fp_ieee_inexact 0
		.amdhsa_exception_int_div_zero 0
	.end_amdhsa_kernel
	.section	.text._Z30block_run_length_decode_kernelIfiLj256ELj1ELj14EEvPKT_PKT0_PS0_,"axG",@progbits,_Z30block_run_length_decode_kernelIfiLj256ELj1ELj14EEvPKT_PKT0_PS0_,comdat
.Lfunc_end8:
	.size	_Z30block_run_length_decode_kernelIfiLj256ELj1ELj14EEvPKT_PKT0_PS0_, .Lfunc_end8-_Z30block_run_length_decode_kernelIfiLj256ELj1ELj14EEvPKT_PKT0_PS0_
                                        ; -- End function
	.set _Z30block_run_length_decode_kernelIfiLj256ELj1ELj14EEvPKT_PKT0_PS0_.num_vgpr, 36
	.set _Z30block_run_length_decode_kernelIfiLj256ELj1ELj14EEvPKT_PKT0_PS0_.num_agpr, 0
	.set _Z30block_run_length_decode_kernelIfiLj256ELj1ELj14EEvPKT_PKT0_PS0_.numbered_sgpr, 9
	.set _Z30block_run_length_decode_kernelIfiLj256ELj1ELj14EEvPKT_PKT0_PS0_.num_named_barrier, 0
	.set _Z30block_run_length_decode_kernelIfiLj256ELj1ELj14EEvPKT_PKT0_PS0_.private_seg_size, 0
	.set _Z30block_run_length_decode_kernelIfiLj256ELj1ELj14EEvPKT_PKT0_PS0_.uses_vcc, 1
	.set _Z30block_run_length_decode_kernelIfiLj256ELj1ELj14EEvPKT_PKT0_PS0_.uses_flat_scratch, 0
	.set _Z30block_run_length_decode_kernelIfiLj256ELj1ELj14EEvPKT_PKT0_PS0_.has_dyn_sized_stack, 0
	.set _Z30block_run_length_decode_kernelIfiLj256ELj1ELj14EEvPKT_PKT0_PS0_.has_recursion, 0
	.set _Z30block_run_length_decode_kernelIfiLj256ELj1ELj14EEvPKT_PKT0_PS0_.has_indirect_call, 0
	.section	.AMDGPU.csdata,"",@progbits
; Kernel info:
; codeLenInByte = 2968
; TotalNumSgprs: 13
; NumVgprs: 36
; ScratchSize: 0
; MemoryBound: 0
; FloatMode: 240
; IeeeMode: 1
; LDSByteSize: 2048 bytes/workgroup (compile time only)
; SGPRBlocks: 1
; VGPRBlocks: 8
; NumSGPRsForWavesPerEU: 13
; NumVGPRsForWavesPerEU: 36
; Occupancy: 7
; WaveLimiterHint : 0
; COMPUTE_PGM_RSRC2:SCRATCH_EN: 0
; COMPUTE_PGM_RSRC2:USER_SGPR: 6
; COMPUTE_PGM_RSRC2:TRAP_HANDLER: 0
; COMPUTE_PGM_RSRC2:TGID_X_EN: 1
; COMPUTE_PGM_RSRC2:TGID_Y_EN: 0
; COMPUTE_PGM_RSRC2:TGID_Z_EN: 0
; COMPUTE_PGM_RSRC2:TIDIG_COMP_CNT: 0
	.section	.text._Z30block_run_length_decode_kernelIcxLj256ELj1ELj14EEvPKT_PKT0_PS0_,"axG",@progbits,_Z30block_run_length_decode_kernelIcxLj256ELj1ELj14EEvPKT_PKT0_PS0_,comdat
	.protected	_Z30block_run_length_decode_kernelIcxLj256ELj1ELj14EEvPKT_PKT0_PS0_ ; -- Begin function _Z30block_run_length_decode_kernelIcxLj256ELj1ELj14EEvPKT_PKT0_PS0_
	.globl	_Z30block_run_length_decode_kernelIcxLj256ELj1ELj14EEvPKT_PKT0_PS0_
	.p2align	8
	.type	_Z30block_run_length_decode_kernelIcxLj256ELj1ELj14EEvPKT_PKT0_PS0_,@function
_Z30block_run_length_decode_kernelIcxLj256ELj1ELj14EEvPKT_PKT0_PS0_: ; @_Z30block_run_length_decode_kernelIcxLj256ELj1ELj14EEvPKT_PKT0_PS0_
; %bb.0:
	s_load_dwordx4 s[0:3], s[4:5], 0x0
	v_lshl_or_b32 v1, s6, 8, v0
	v_mov_b32_e32 v2, 0
	v_lshlrev_b64 v[2:3], 3, v[1:2]
	v_or_b32_e32 v7, 63, v0
	s_waitcnt lgkmcnt(0)
	v_mov_b32_e32 v5, s3
	v_add_co_u32_e32 v4, vcc, s2, v2
	v_addc_co_u32_e32 v5, vcc, v5, v3, vcc
	global_load_dword v6, v[4:5], off
	global_load_ubyte v2, v1, s[0:1]
	v_mbcnt_lo_u32_b32 v3, -1, 0
	v_mbcnt_hi_u32_b32 v3, -1, v3
	v_and_b32_e32 v5, 15, v3
	v_cmp_ne_u32_e32 vcc, 0, v5
	v_bfe_i32 v8, v3, 4, 1
	v_lshrrev_b32_e32 v4, 6, v0
	s_waitcnt vmcnt(1)
	v_mov_b32_dpp v9, v6 row_shr:1 row_mask:0xf bank_mask:0xf
	v_cndmask_b32_e32 v9, 0, v9, vcc
	v_add_u32_e32 v6, v9, v6
	v_cmp_lt_u32_e32 vcc, 1, v5
	s_nop 0
	v_mov_b32_dpp v9, v6 row_shr:2 row_mask:0xf bank_mask:0xf
	v_cndmask_b32_e32 v9, 0, v9, vcc
	v_add_u32_e32 v6, v6, v9
	v_cmp_lt_u32_e32 vcc, 3, v5
	s_nop 0
	;; [unrolled: 5-line block ×4, first 2 shown]
	v_mov_b32_dpp v6, v5 row_bcast:15 row_mask:0xf bank_mask:0xf
	v_and_b32_e32 v6, v8, v6
	v_add_u32_e32 v5, v5, v6
	s_nop 1
	v_mov_b32_dpp v6, v5 row_bcast:31 row_mask:0xf bank_mask:0xf
	v_cndmask_b32_e32 v6, 0, v6, vcc
	v_add_u32_e32 v5, v5, v6
	v_cmp_eq_u32_e32 vcc, v0, v7
	s_and_saveexec_b64 s[0:1], vcc
; %bb.1:
	v_lshlrev_b32_e32 v6, 2, v4
	ds_write_b32 v6, v5
; %bb.2:
	s_or_b64 exec, exec, s[0:1]
	v_cmp_gt_u32_e32 vcc, 4, v0
	s_waitcnt vmcnt(0) lgkmcnt(0)
	s_barrier
	s_and_saveexec_b64 s[0:1], vcc
	s_cbranch_execz .LBB9_4
; %bb.3:
	v_lshlrev_b32_e32 v6, 2, v0
	ds_read_b32 v7, v6
	v_and_b32_e32 v8, 3, v3
	v_cmp_ne_u32_e32 vcc, 0, v8
	s_waitcnt lgkmcnt(0)
	v_mov_b32_dpp v9, v7 row_shr:1 row_mask:0xf bank_mask:0xf
	v_cndmask_b32_e32 v9, 0, v9, vcc
	v_add_u32_e32 v7, v9, v7
	v_cmp_lt_u32_e32 vcc, 1, v8
	s_nop 0
	v_mov_b32_dpp v9, v7 row_shr:2 row_mask:0xf bank_mask:0xf
	v_cndmask_b32_e32 v8, 0, v9, vcc
	v_add_u32_e32 v7, v7, v8
	ds_write_b32 v6, v7
.LBB9_4:
	s_or_b64 exec, exec, s[0:1]
	v_cmp_lt_u32_e32 vcc, 63, v0
	v_mov_b32_e32 v6, 0
	v_mov_b32_e32 v7, 0
	s_waitcnt lgkmcnt(0)
	s_barrier
	s_and_saveexec_b64 s[0:1], vcc
; %bb.5:
	v_lshl_add_u32 v4, v4, 2, -4
	ds_read_b32 v7, v4
; %bb.6:
	s_or_b64 exec, exec, s[0:1]
	s_waitcnt lgkmcnt(0)
	v_add_u32_e32 v4, v7, v5
	v_subrev_co_u32_e32 v5, vcc, 1, v3
	v_and_b32_e32 v8, 64, v3
	v_cmp_lt_i32_e64 s[0:1], v5, v8
	v_cndmask_b32_e64 v3, v5, v3, s[0:1]
	v_lshlrev_b32_e32 v3, 2, v3
	ds_bpermute_b32 v3, v3, v4
	ds_read_b32 v4, v6 offset:12
	s_waitcnt lgkmcnt(0)
	s_barrier
	v_cndmask_b32_e32 v3, v3, v7, vcc
	v_cmp_eq_u32_e32 vcc, 0, v4
	v_readfirstlane_b32 s6, v4
	ds_write_b8 v0, v2
	v_mad_u32_u24 v2, v0, 3, v0
	s_and_b64 vcc, exec, vcc
	s_mov_b32 s7, 0
	ds_write_b32 v2, v3 offset:256
	s_waitcnt lgkmcnt(0)
	s_barrier
	s_cbranch_vccnz .LBB9_115
; %bb.7:
	s_load_dwordx2 s[0:1], s[4:5], 0x10
	v_mul_u32_u24_e32 v2, 14, v0
	v_mul_lo_u32 v3, v1, 14
	v_mov_b32_e32 v0, 0
	ds_read_b32 v16, v0 offset:768
	s_waitcnt lgkmcnt(0)
	v_mov_b32_e32 v1, s1
	v_add_co_u32_e32 v4, vcc, s0, v3
	v_addc_co_u32_e32 v5, vcc, 0, v1, vcc
	v_add_u32_e32 v6, 4, v3
	v_add_u32_e32 v7, 5, v3
	;; [unrolled: 1-line block ×10, first 2 shown]
	s_movk_i32 s4, 0xff
	v_mov_b32_e32 v17, 0x81
	v_mov_b32_e32 v18, 0x100
	s_mov_b32 s5, s6
	v_mov_b32_e32 v19, 0x80
	v_mov_b32_e32 v20, 0xc0
	s_branch .LBB9_9
.LBB9_8:                                ;   in Loop: Header=BB9_9 Depth=1
	s_or_b64 exec, exec, s[0:1]
	s_addk_i32 s7, 0xe00
	s_addk_i32 s5, 0xf200
	s_cmp_lt_u32 s7, s6
	s_cbranch_scc0 .LBB9_115
.LBB9_9:                                ; =>This Inner Loop Header: Depth=1
	v_add_u32_e32 v0, s7, v2
	v_cmp_lt_u32_e32 vcc, v0, v16
	v_cndmask_b32_e64 v21, v20, 64, vcc
	v_lshlrev_b32_e32 v22, 2, v21
	ds_read_b32 v22, v22 offset:256
	v_cndmask_b32_e64 v1, v17, 0, vcc
	v_cndmask_b32_e32 v23, v18, v19, vcc
	v_or_b32_e32 v24, 1, v21
	s_waitcnt lgkmcnt(0)
	v_cmp_lt_u32_e32 vcc, v0, v22
	v_cndmask_b32_e32 v1, v24, v1, vcc
	v_cndmask_b32_e32 v21, v23, v21, vcc
	v_sub_u32_e32 v22, v21, v1
	v_lshrrev_b16_e32 v23, 15, v22
	v_add_u16_e32 v22, v22, v23
	v_ashrrev_i16_e32 v22, 1, v22
	v_add_u32_sdwa v22, v1, sext(v22) dst_sel:DWORD dst_unused:UNUSED_PAD src0_sel:DWORD src1_sel:WORD_0
	v_min_i32_e32 v22, 0xff, v22
	v_lshlrev_b32_e32 v23, 2, v22
	ds_read_b32 v23, v23 offset:256
	v_add_u32_e32 v24, 1, v22
	s_waitcnt lgkmcnt(0)
	v_cmp_lt_u32_e32 vcc, v0, v23
	v_cndmask_b32_e32 v1, v24, v1, vcc
	v_cndmask_b32_e32 v21, v21, v22, vcc
	v_sub_u32_e32 v22, v21, v1
	v_lshrrev_b16_e32 v23, 15, v22
	v_add_u16_e32 v22, v22, v23
	v_ashrrev_i16_e32 v22, 1, v22
	v_add_u32_sdwa v22, v1, sext(v22) dst_sel:DWORD dst_unused:UNUSED_PAD src0_sel:DWORD src1_sel:WORD_0
	v_min_i32_e32 v22, 0xff, v22
	v_lshlrev_b32_e32 v23, 2, v22
	ds_read_b32 v23, v23 offset:256
	v_add_u32_e32 v24, 1, v22
	;; [unrolled: 13-line block ×7, first 2 shown]
	s_waitcnt lgkmcnt(0)
	v_cmp_lt_u32_e32 vcc, v0, v22
	v_cndmask_b32_e32 v23, v21, v1, vcc
	v_add_u32_e32 v1, -1, v23
	v_cmp_ne_u32_e32 vcc, s4, v1
                                        ; implicit-def: $vgpr22
	s_and_saveexec_b64 s[0:1], vcc
	s_xor_b64 s[0:1], exec, s[0:1]
; %bb.10:                               ;   in Loop: Header=BB9_9 Depth=1
	v_lshlrev_b32_e32 v21, 2, v23
	ds_read_b32 v22, v21 offset:256
; %bb.11:                               ;   in Loop: Header=BB9_9 Depth=1
	s_andn2_saveexec_b64 s[0:1], s[0:1]
	s_cbranch_execz .LBB9_13
; %bb.12:                               ;   in Loop: Header=BB9_9 Depth=1
	s_waitcnt lgkmcnt(0)
	v_add_u32_e32 v22, 14, v0
.LBB9_13:                               ;   in Loop: Header=BB9_9 Depth=1
	s_or_b64 exec, exec, s[0:1]
	ds_read_u8 v21, v1
	s_waitcnt lgkmcnt(1)
	v_add_u32_e32 v31, -1, v22
	v_cmp_eq_u32_e32 vcc, v0, v31
	s_waitcnt lgkmcnt(0)
	v_mov_b32_e32 v22, v21
	s_and_saveexec_b64 s[0:1], vcc
	s_cbranch_execz .LBB9_19
; %bb.14:                               ;   in Loop: Header=BB9_9 Depth=1
	v_cmp_ne_u32_e32 vcc, s4, v23
                                        ; implicit-def: $vgpr1
	s_and_saveexec_b64 s[2:3], vcc
	s_xor_b64 s[2:3], exec, s[2:3]
; %bb.15:                               ;   in Loop: Header=BB9_9 Depth=1
	v_lshlrev_b32_e32 v1, 2, v23
	ds_read_b32 v1, v1 offset:260
; %bb.16:                               ;   in Loop: Header=BB9_9 Depth=1
	s_andn2_saveexec_b64 s[2:3], s[2:3]
	s_cbranch_execz .LBB9_18
; %bb.17:                               ;   in Loop: Header=BB9_9 Depth=1
	s_waitcnt lgkmcnt(0)
	v_add_u32_e32 v1, 14, v0
.LBB9_18:                               ;   in Loop: Header=BB9_9 Depth=1
	s_or_b64 exec, exec, s[2:3]
	ds_read_u8 v22, v23
	s_waitcnt lgkmcnt(1)
	v_add_u32_e32 v31, -1, v1
	v_mov_b32_e32 v1, v23
.LBB9_19:                               ;   in Loop: Header=BB9_9 Depth=1
	s_or_b64 exec, exec, s[0:1]
	v_add_u32_e32 v23, 1, v0
	v_cmp_eq_u32_e32 vcc, v23, v31
	s_waitcnt lgkmcnt(0)
	v_mov_b32_e32 v23, v22
	s_and_saveexec_b64 s[0:1], vcc
	s_cbranch_execz .LBB9_25
; %bb.20:                               ;   in Loop: Header=BB9_9 Depth=1
	v_add_u32_e32 v24, 1, v1
	v_cmp_ne_u32_e32 vcc, s4, v24
                                        ; implicit-def: $vgpr25
	s_and_saveexec_b64 s[2:3], vcc
	s_xor_b64 s[2:3], exec, s[2:3]
; %bb.21:                               ;   in Loop: Header=BB9_9 Depth=1
	v_lshlrev_b32_e32 v23, 2, v1
	ds_read_b32 v25, v23 offset:264
; %bb.22:                               ;   in Loop: Header=BB9_9 Depth=1
	s_andn2_saveexec_b64 s[2:3], s[2:3]
	s_cbranch_execz .LBB9_24
; %bb.23:                               ;   in Loop: Header=BB9_9 Depth=1
	s_waitcnt lgkmcnt(0)
	v_add_u32_e32 v25, 15, v0
.LBB9_24:                               ;   in Loop: Header=BB9_9 Depth=1
	s_or_b64 exec, exec, s[2:3]
	ds_read_u8 v23, v1 offset:1
	s_waitcnt lgkmcnt(1)
	v_add_u32_e32 v31, -1, v25
	v_mov_b32_e32 v1, v24
.LBB9_25:                               ;   in Loop: Header=BB9_9 Depth=1
	s_or_b64 exec, exec, s[0:1]
	v_add_u32_e32 v24, 2, v0
	v_cmp_eq_u32_e32 vcc, v24, v31
	s_waitcnt lgkmcnt(0)
	v_mov_b32_e32 v24, v23
	s_and_saveexec_b64 s[0:1], vcc
	s_cbranch_execz .LBB9_31
; %bb.26:                               ;   in Loop: Header=BB9_9 Depth=1
	v_add_u32_e32 v25, 1, v1
	v_cmp_ne_u32_e32 vcc, s4, v25
                                        ; implicit-def: $vgpr26
	s_and_saveexec_b64 s[2:3], vcc
	s_xor_b64 s[2:3], exec, s[2:3]
; %bb.27:                               ;   in Loop: Header=BB9_9 Depth=1
	v_lshlrev_b32_e32 v24, 2, v1
	ds_read_b32 v26, v24 offset:264
; %bb.28:                               ;   in Loop: Header=BB9_9 Depth=1
	s_andn2_saveexec_b64 s[2:3], s[2:3]
	s_cbranch_execz .LBB9_30
; %bb.29:                               ;   in Loop: Header=BB9_9 Depth=1
	s_waitcnt lgkmcnt(0)
	v_add_u32_e32 v26, 16, v0
.LBB9_30:                               ;   in Loop: Header=BB9_9 Depth=1
	s_or_b64 exec, exec, s[2:3]
	ds_read_u8 v24, v1 offset:1
	s_waitcnt lgkmcnt(1)
	v_add_u32_e32 v31, -1, v26
	v_mov_b32_e32 v1, v25
.LBB9_31:                               ;   in Loop: Header=BB9_9 Depth=1
	s_or_b64 exec, exec, s[0:1]
	v_add_u32_e32 v25, 3, v0
	v_cmp_eq_u32_e32 vcc, v25, v31
	s_waitcnt lgkmcnt(0)
	v_mov_b32_e32 v25, v24
	s_and_saveexec_b64 s[0:1], vcc
	s_cbranch_execz .LBB9_37
; %bb.32:                               ;   in Loop: Header=BB9_9 Depth=1
	v_add_u32_e32 v26, 1, v1
	v_cmp_ne_u32_e32 vcc, s4, v26
                                        ; implicit-def: $vgpr27
	s_and_saveexec_b64 s[2:3], vcc
	s_xor_b64 s[2:3], exec, s[2:3]
; %bb.33:                               ;   in Loop: Header=BB9_9 Depth=1
	v_lshlrev_b32_e32 v25, 2, v1
	ds_read_b32 v27, v25 offset:264
; %bb.34:                               ;   in Loop: Header=BB9_9 Depth=1
	s_andn2_saveexec_b64 s[2:3], s[2:3]
	s_cbranch_execz .LBB9_36
; %bb.35:                               ;   in Loop: Header=BB9_9 Depth=1
	s_waitcnt lgkmcnt(0)
	v_add_u32_e32 v27, 17, v0
.LBB9_36:                               ;   in Loop: Header=BB9_9 Depth=1
	s_or_b64 exec, exec, s[2:3]
	ds_read_u8 v25, v1 offset:1
	s_waitcnt lgkmcnt(1)
	v_add_u32_e32 v31, -1, v27
	v_mov_b32_e32 v1, v26
.LBB9_37:                               ;   in Loop: Header=BB9_9 Depth=1
	s_or_b64 exec, exec, s[0:1]
	v_add_u32_e32 v26, 4, v0
	v_cmp_eq_u32_e32 vcc, v26, v31
	s_waitcnt lgkmcnt(0)
	v_mov_b32_e32 v26, v25
	s_and_saveexec_b64 s[0:1], vcc
	s_cbranch_execz .LBB9_43
; %bb.38:                               ;   in Loop: Header=BB9_9 Depth=1
	v_add_u32_e32 v27, 1, v1
	v_cmp_ne_u32_e32 vcc, s4, v27
                                        ; implicit-def: $vgpr28
	s_and_saveexec_b64 s[2:3], vcc
	s_xor_b64 s[2:3], exec, s[2:3]
; %bb.39:                               ;   in Loop: Header=BB9_9 Depth=1
	v_lshlrev_b32_e32 v26, 2, v1
	ds_read_b32 v28, v26 offset:264
; %bb.40:                               ;   in Loop: Header=BB9_9 Depth=1
	s_andn2_saveexec_b64 s[2:3], s[2:3]
	s_cbranch_execz .LBB9_42
; %bb.41:                               ;   in Loop: Header=BB9_9 Depth=1
	s_waitcnt lgkmcnt(0)
	v_add_u32_e32 v28, 18, v0
.LBB9_42:                               ;   in Loop: Header=BB9_9 Depth=1
	s_or_b64 exec, exec, s[2:3]
	ds_read_u8 v26, v1 offset:1
	s_waitcnt lgkmcnt(1)
	v_add_u32_e32 v31, -1, v28
	v_mov_b32_e32 v1, v27
.LBB9_43:                               ;   in Loop: Header=BB9_9 Depth=1
	s_or_b64 exec, exec, s[0:1]
	v_add_u32_e32 v27, 5, v0
	v_cmp_eq_u32_e32 vcc, v27, v31
	s_waitcnt lgkmcnt(0)
	v_mov_b32_e32 v27, v26
	s_and_saveexec_b64 s[0:1], vcc
	s_cbranch_execz .LBB9_49
; %bb.44:                               ;   in Loop: Header=BB9_9 Depth=1
	v_add_u32_e32 v28, 1, v1
	v_cmp_ne_u32_e32 vcc, s4, v28
                                        ; implicit-def: $vgpr29
	s_and_saveexec_b64 s[2:3], vcc
	s_xor_b64 s[2:3], exec, s[2:3]
; %bb.45:                               ;   in Loop: Header=BB9_9 Depth=1
	v_lshlrev_b32_e32 v27, 2, v1
	ds_read_b32 v29, v27 offset:264
; %bb.46:                               ;   in Loop: Header=BB9_9 Depth=1
	s_andn2_saveexec_b64 s[2:3], s[2:3]
	s_cbranch_execz .LBB9_48
; %bb.47:                               ;   in Loop: Header=BB9_9 Depth=1
	s_waitcnt lgkmcnt(0)
	v_add_u32_e32 v29, 19, v0
.LBB9_48:                               ;   in Loop: Header=BB9_9 Depth=1
	s_or_b64 exec, exec, s[2:3]
	ds_read_u8 v27, v1 offset:1
	s_waitcnt lgkmcnt(1)
	v_add_u32_e32 v31, -1, v29
	v_mov_b32_e32 v1, v28
.LBB9_49:                               ;   in Loop: Header=BB9_9 Depth=1
	s_or_b64 exec, exec, s[0:1]
	v_add_u32_e32 v28, 6, v0
	v_cmp_eq_u32_e32 vcc, v28, v31
	s_waitcnt lgkmcnt(0)
	v_mov_b32_e32 v28, v27
	s_and_saveexec_b64 s[0:1], vcc
	s_cbranch_execz .LBB9_55
; %bb.50:                               ;   in Loop: Header=BB9_9 Depth=1
	v_add_u32_e32 v29, 1, v1
	v_cmp_ne_u32_e32 vcc, s4, v29
                                        ; implicit-def: $vgpr30
	s_and_saveexec_b64 s[2:3], vcc
	s_xor_b64 s[2:3], exec, s[2:3]
; %bb.51:                               ;   in Loop: Header=BB9_9 Depth=1
	v_lshlrev_b32_e32 v28, 2, v1
	ds_read_b32 v30, v28 offset:264
; %bb.52:                               ;   in Loop: Header=BB9_9 Depth=1
	s_andn2_saveexec_b64 s[2:3], s[2:3]
	s_cbranch_execz .LBB9_54
; %bb.53:                               ;   in Loop: Header=BB9_9 Depth=1
	s_waitcnt lgkmcnt(0)
	v_add_u32_e32 v30, 20, v0
.LBB9_54:                               ;   in Loop: Header=BB9_9 Depth=1
	s_or_b64 exec, exec, s[2:3]
	ds_read_u8 v28, v1 offset:1
	s_waitcnt lgkmcnt(1)
	v_add_u32_e32 v31, -1, v30
	v_mov_b32_e32 v1, v29
.LBB9_55:                               ;   in Loop: Header=BB9_9 Depth=1
	s_or_b64 exec, exec, s[0:1]
	v_add_u32_e32 v29, 7, v0
	v_cmp_eq_u32_e32 vcc, v29, v31
	s_waitcnt lgkmcnt(0)
	v_mov_b32_e32 v29, v28
	s_and_saveexec_b64 s[0:1], vcc
	s_cbranch_execz .LBB9_61
; %bb.56:                               ;   in Loop: Header=BB9_9 Depth=1
	v_add_u32_e32 v30, 1, v1
	v_cmp_ne_u32_e32 vcc, s4, v30
                                        ; implicit-def: $vgpr31
	s_and_saveexec_b64 s[2:3], vcc
	s_xor_b64 s[2:3], exec, s[2:3]
; %bb.57:                               ;   in Loop: Header=BB9_9 Depth=1
	v_lshlrev_b32_e32 v29, 2, v1
	ds_read_b32 v31, v29 offset:264
; %bb.58:                               ;   in Loop: Header=BB9_9 Depth=1
	s_andn2_saveexec_b64 s[2:3], s[2:3]
	s_cbranch_execz .LBB9_60
; %bb.59:                               ;   in Loop: Header=BB9_9 Depth=1
	s_waitcnt lgkmcnt(0)
	v_add_u32_e32 v31, 21, v0
.LBB9_60:                               ;   in Loop: Header=BB9_9 Depth=1
	s_or_b64 exec, exec, s[2:3]
	ds_read_u8 v29, v1 offset:1
	s_waitcnt lgkmcnt(1)
	v_add_u32_e32 v31, -1, v31
	v_mov_b32_e32 v1, v30
.LBB9_61:                               ;   in Loop: Header=BB9_9 Depth=1
	s_or_b64 exec, exec, s[0:1]
	v_add_u32_e32 v30, 8, v0
	v_cmp_eq_u32_e32 vcc, v30, v31
	s_waitcnt lgkmcnt(0)
	v_mov_b32_e32 v30, v29
	s_and_saveexec_b64 s[0:1], vcc
	s_cbranch_execz .LBB9_67
; %bb.62:                               ;   in Loop: Header=BB9_9 Depth=1
	v_add_u32_e32 v32, 1, v1
	v_cmp_ne_u32_e32 vcc, s4, v32
                                        ; implicit-def: $vgpr31
	s_and_saveexec_b64 s[2:3], vcc
	s_xor_b64 s[2:3], exec, s[2:3]
; %bb.63:                               ;   in Loop: Header=BB9_9 Depth=1
	v_lshlrev_b32_e32 v30, 2, v1
	ds_read_b32 v31, v30 offset:264
; %bb.64:                               ;   in Loop: Header=BB9_9 Depth=1
	s_andn2_saveexec_b64 s[2:3], s[2:3]
	s_cbranch_execz .LBB9_66
; %bb.65:                               ;   in Loop: Header=BB9_9 Depth=1
	s_waitcnt lgkmcnt(0)
	v_add_u32_e32 v31, 22, v0
.LBB9_66:                               ;   in Loop: Header=BB9_9 Depth=1
	s_or_b64 exec, exec, s[2:3]
	ds_read_u8 v30, v1 offset:1
	s_waitcnt lgkmcnt(1)
	v_add_u32_e32 v31, -1, v31
	v_mov_b32_e32 v1, v32
.LBB9_67:                               ;   in Loop: Header=BB9_9 Depth=1
	;; [unrolled: 29-line block ×5, first 2 shown]
	s_or_b64 exec, exec, s[0:1]
	v_add_u32_e32 v0, 12, v0
	v_cmp_eq_u32_e32 vcc, v0, v31
	s_waitcnt lgkmcnt(0)
	v_mov_b32_e32 v31, v34
	s_and_saveexec_b64 s[0:1], vcc
; %bb.86:                               ;   in Loop: Header=BB9_9 Depth=1
	ds_read_u8 v31, v1 offset:1
; %bb.87:                               ;   in Loop: Header=BB9_9 Depth=1
	s_or_b64 exec, exec, s[0:1]
	v_add_co_u32_e32 v0, vcc, s7, v4
	s_min_u32 s2, s5, 0xe00
	v_addc_co_u32_e32 v1, vcc, 0, v5, vcc
	v_cmp_gt_u32_e32 vcc, s2, v3
	s_and_saveexec_b64 s[0:1], vcc
	s_cbranch_execz .LBB9_89
; %bb.88:                               ;   in Loop: Header=BB9_9 Depth=1
	global_store_byte v[0:1], v21, off
.LBB9_89:                               ;   in Loop: Header=BB9_9 Depth=1
	s_or_b64 exec, exec, s[0:1]
	v_or_b32_e32 v21, 1, v3
	v_cmp_gt_u32_e32 vcc, s2, v21
	s_and_saveexec_b64 s[0:1], vcc
	s_cbranch_execz .LBB9_91
; %bb.90:                               ;   in Loop: Header=BB9_9 Depth=1
	global_store_byte v[0:1], v22, off offset:1
.LBB9_91:                               ;   in Loop: Header=BB9_9 Depth=1
	s_or_b64 exec, exec, s[0:1]
	v_add_u32_e32 v21, 2, v3
	v_cmp_gt_u32_e32 vcc, s2, v21
	s_and_saveexec_b64 s[0:1], vcc
	s_cbranch_execz .LBB9_93
; %bb.92:                               ;   in Loop: Header=BB9_9 Depth=1
	global_store_byte v[0:1], v23, off offset:2
.LBB9_93:                               ;   in Loop: Header=BB9_9 Depth=1
	s_or_b64 exec, exec, s[0:1]
	v_add_u32_e32 v21, 3, v3
	v_cmp_gt_u32_e32 vcc, s2, v21
	s_and_saveexec_b64 s[0:1], vcc
	s_cbranch_execnz .LBB9_104
; %bb.94:                               ;   in Loop: Header=BB9_9 Depth=1
	s_or_b64 exec, exec, s[0:1]
	v_cmp_gt_u32_e32 vcc, s2, v6
	s_and_saveexec_b64 s[0:1], vcc
	s_cbranch_execnz .LBB9_105
.LBB9_95:                               ;   in Loop: Header=BB9_9 Depth=1
	s_or_b64 exec, exec, s[0:1]
	v_cmp_gt_u32_e32 vcc, s2, v7
	s_and_saveexec_b64 s[0:1], vcc
	s_cbranch_execnz .LBB9_106
.LBB9_96:                               ;   in Loop: Header=BB9_9 Depth=1
	s_or_b64 exec, exec, s[0:1]
	v_cmp_gt_u32_e32 vcc, s2, v8
	s_and_saveexec_b64 s[0:1], vcc
	s_cbranch_execnz .LBB9_107
.LBB9_97:                               ;   in Loop: Header=BB9_9 Depth=1
	s_or_b64 exec, exec, s[0:1]
	v_cmp_gt_u32_e32 vcc, s2, v9
	s_and_saveexec_b64 s[0:1], vcc
	s_cbranch_execnz .LBB9_108
.LBB9_98:                               ;   in Loop: Header=BB9_9 Depth=1
	s_or_b64 exec, exec, s[0:1]
	v_cmp_gt_u32_e32 vcc, s2, v10
	s_and_saveexec_b64 s[0:1], vcc
	s_cbranch_execnz .LBB9_109
.LBB9_99:                               ;   in Loop: Header=BB9_9 Depth=1
	s_or_b64 exec, exec, s[0:1]
	v_cmp_gt_u32_e32 vcc, s2, v11
	s_and_saveexec_b64 s[0:1], vcc
	s_cbranch_execnz .LBB9_110
.LBB9_100:                              ;   in Loop: Header=BB9_9 Depth=1
	s_or_b64 exec, exec, s[0:1]
	v_cmp_gt_u32_e32 vcc, s2, v12
	s_and_saveexec_b64 s[0:1], vcc
	s_cbranch_execnz .LBB9_111
.LBB9_101:                              ;   in Loop: Header=BB9_9 Depth=1
	s_or_b64 exec, exec, s[0:1]
	v_cmp_gt_u32_e32 vcc, s2, v13
	s_and_saveexec_b64 s[0:1], vcc
	s_cbranch_execnz .LBB9_112
.LBB9_102:                              ;   in Loop: Header=BB9_9 Depth=1
	s_or_b64 exec, exec, s[0:1]
	v_cmp_gt_u32_e32 vcc, s2, v14
	s_and_saveexec_b64 s[0:1], vcc
	s_cbranch_execnz .LBB9_113
.LBB9_103:                              ;   in Loop: Header=BB9_9 Depth=1
	s_or_b64 exec, exec, s[0:1]
	v_cmp_gt_u32_e32 vcc, s2, v15
	s_and_saveexec_b64 s[0:1], vcc
	s_cbranch_execz .LBB9_8
	s_branch .LBB9_114
.LBB9_104:                              ;   in Loop: Header=BB9_9 Depth=1
	global_store_byte v[0:1], v24, off offset:3
	s_or_b64 exec, exec, s[0:1]
	v_cmp_gt_u32_e32 vcc, s2, v6
	s_and_saveexec_b64 s[0:1], vcc
	s_cbranch_execz .LBB9_95
.LBB9_105:                              ;   in Loop: Header=BB9_9 Depth=1
	global_store_byte v[0:1], v25, off offset:4
	s_or_b64 exec, exec, s[0:1]
	v_cmp_gt_u32_e32 vcc, s2, v7
	s_and_saveexec_b64 s[0:1], vcc
	s_cbranch_execz .LBB9_96
.LBB9_106:                              ;   in Loop: Header=BB9_9 Depth=1
	global_store_byte v[0:1], v26, off offset:5
	s_or_b64 exec, exec, s[0:1]
	v_cmp_gt_u32_e32 vcc, s2, v8
	s_and_saveexec_b64 s[0:1], vcc
	s_cbranch_execz .LBB9_97
.LBB9_107:                              ;   in Loop: Header=BB9_9 Depth=1
	global_store_byte v[0:1], v27, off offset:6
	s_or_b64 exec, exec, s[0:1]
	v_cmp_gt_u32_e32 vcc, s2, v9
	s_and_saveexec_b64 s[0:1], vcc
	s_cbranch_execz .LBB9_98
.LBB9_108:                              ;   in Loop: Header=BB9_9 Depth=1
	global_store_byte v[0:1], v28, off offset:7
	s_or_b64 exec, exec, s[0:1]
	v_cmp_gt_u32_e32 vcc, s2, v10
	s_and_saveexec_b64 s[0:1], vcc
	s_cbranch_execz .LBB9_99
.LBB9_109:                              ;   in Loop: Header=BB9_9 Depth=1
	global_store_byte v[0:1], v29, off offset:8
	s_or_b64 exec, exec, s[0:1]
	v_cmp_gt_u32_e32 vcc, s2, v11
	s_and_saveexec_b64 s[0:1], vcc
	s_cbranch_execz .LBB9_100
.LBB9_110:                              ;   in Loop: Header=BB9_9 Depth=1
	global_store_byte v[0:1], v30, off offset:9
	s_or_b64 exec, exec, s[0:1]
	v_cmp_gt_u32_e32 vcc, s2, v12
	s_and_saveexec_b64 s[0:1], vcc
	s_cbranch_execz .LBB9_101
.LBB9_111:                              ;   in Loop: Header=BB9_9 Depth=1
	global_store_byte v[0:1], v32, off offset:10
	s_or_b64 exec, exec, s[0:1]
	v_cmp_gt_u32_e32 vcc, s2, v13
	s_and_saveexec_b64 s[0:1], vcc
	s_cbranch_execz .LBB9_102
.LBB9_112:                              ;   in Loop: Header=BB9_9 Depth=1
	global_store_byte v[0:1], v33, off offset:11
	s_or_b64 exec, exec, s[0:1]
	v_cmp_gt_u32_e32 vcc, s2, v14
	s_and_saveexec_b64 s[0:1], vcc
	s_cbranch_execz .LBB9_103
.LBB9_113:                              ;   in Loop: Header=BB9_9 Depth=1
	global_store_byte v[0:1], v34, off offset:12
	s_or_b64 exec, exec, s[0:1]
	v_cmp_gt_u32_e32 vcc, s2, v15
	s_and_saveexec_b64 s[0:1], vcc
	s_cbranch_execz .LBB9_8
.LBB9_114:                              ;   in Loop: Header=BB9_9 Depth=1
	s_waitcnt lgkmcnt(0)
	global_store_byte v[0:1], v31, off offset:13
	s_branch .LBB9_8
.LBB9_115:
	s_endpgm
	.section	.rodata,"a",@progbits
	.p2align	6, 0x0
	.amdhsa_kernel _Z30block_run_length_decode_kernelIcxLj256ELj1ELj14EEvPKT_PKT0_PS0_
		.amdhsa_group_segment_fixed_size 1280
		.amdhsa_private_segment_fixed_size 0
		.amdhsa_kernarg_size 24
		.amdhsa_user_sgpr_count 6
		.amdhsa_user_sgpr_private_segment_buffer 1
		.amdhsa_user_sgpr_dispatch_ptr 0
		.amdhsa_user_sgpr_queue_ptr 0
		.amdhsa_user_sgpr_kernarg_segment_ptr 1
		.amdhsa_user_sgpr_dispatch_id 0
		.amdhsa_user_sgpr_flat_scratch_init 0
		.amdhsa_user_sgpr_private_segment_size 0
		.amdhsa_uses_dynamic_stack 0
		.amdhsa_system_sgpr_private_segment_wavefront_offset 0
		.amdhsa_system_sgpr_workgroup_id_x 1
		.amdhsa_system_sgpr_workgroup_id_y 0
		.amdhsa_system_sgpr_workgroup_id_z 0
		.amdhsa_system_sgpr_workgroup_info 0
		.amdhsa_system_vgpr_workitem_id 0
		.amdhsa_next_free_vgpr 36
		.amdhsa_next_free_sgpr 8
		.amdhsa_reserve_vcc 1
		.amdhsa_reserve_flat_scratch 0
		.amdhsa_float_round_mode_32 0
		.amdhsa_float_round_mode_16_64 0
		.amdhsa_float_denorm_mode_32 3
		.amdhsa_float_denorm_mode_16_64 3
		.amdhsa_dx10_clamp 1
		.amdhsa_ieee_mode 1
		.amdhsa_fp16_overflow 0
		.amdhsa_exception_fp_ieee_invalid_op 0
		.amdhsa_exception_fp_denorm_src 0
		.amdhsa_exception_fp_ieee_div_zero 0
		.amdhsa_exception_fp_ieee_overflow 0
		.amdhsa_exception_fp_ieee_underflow 0
		.amdhsa_exception_fp_ieee_inexact 0
		.amdhsa_exception_int_div_zero 0
	.end_amdhsa_kernel
	.section	.text._Z30block_run_length_decode_kernelIcxLj256ELj1ELj14EEvPKT_PKT0_PS0_,"axG",@progbits,_Z30block_run_length_decode_kernelIcxLj256ELj1ELj14EEvPKT_PKT0_PS0_,comdat
.Lfunc_end9:
	.size	_Z30block_run_length_decode_kernelIcxLj256ELj1ELj14EEvPKT_PKT0_PS0_, .Lfunc_end9-_Z30block_run_length_decode_kernelIcxLj256ELj1ELj14EEvPKT_PKT0_PS0_
                                        ; -- End function
	.set _Z30block_run_length_decode_kernelIcxLj256ELj1ELj14EEvPKT_PKT0_PS0_.num_vgpr, 36
	.set _Z30block_run_length_decode_kernelIcxLj256ELj1ELj14EEvPKT_PKT0_PS0_.num_agpr, 0
	.set _Z30block_run_length_decode_kernelIcxLj256ELj1ELj14EEvPKT_PKT0_PS0_.numbered_sgpr, 8
	.set _Z30block_run_length_decode_kernelIcxLj256ELj1ELj14EEvPKT_PKT0_PS0_.num_named_barrier, 0
	.set _Z30block_run_length_decode_kernelIcxLj256ELj1ELj14EEvPKT_PKT0_PS0_.private_seg_size, 0
	.set _Z30block_run_length_decode_kernelIcxLj256ELj1ELj14EEvPKT_PKT0_PS0_.uses_vcc, 1
	.set _Z30block_run_length_decode_kernelIcxLj256ELj1ELj14EEvPKT_PKT0_PS0_.uses_flat_scratch, 0
	.set _Z30block_run_length_decode_kernelIcxLj256ELj1ELj14EEvPKT_PKT0_PS0_.has_dyn_sized_stack, 0
	.set _Z30block_run_length_decode_kernelIcxLj256ELj1ELj14EEvPKT_PKT0_PS0_.has_recursion, 0
	.set _Z30block_run_length_decode_kernelIcxLj256ELj1ELj14EEvPKT_PKT0_PS0_.has_indirect_call, 0
	.section	.AMDGPU.csdata,"",@progbits
; Kernel info:
; codeLenInByte = 2948
; TotalNumSgprs: 12
; NumVgprs: 36
; ScratchSize: 0
; MemoryBound: 0
; FloatMode: 240
; IeeeMode: 1
; LDSByteSize: 1280 bytes/workgroup (compile time only)
; SGPRBlocks: 1
; VGPRBlocks: 8
; NumSGPRsForWavesPerEU: 12
; NumVGPRsForWavesPerEU: 36
; Occupancy: 7
; WaveLimiterHint : 0
; COMPUTE_PGM_RSRC2:SCRATCH_EN: 0
; COMPUTE_PGM_RSRC2:USER_SGPR: 6
; COMPUTE_PGM_RSRC2:TRAP_HANDLER: 0
; COMPUTE_PGM_RSRC2:TGID_X_EN: 1
; COMPUTE_PGM_RSRC2:TGID_Y_EN: 0
; COMPUTE_PGM_RSRC2:TGID_Z_EN: 0
; COMPUTE_PGM_RSRC2:TIDIG_COMP_CNT: 0
	.section	.text._Z30block_run_length_decode_kernelIdcLj256ELj1ELj14EEvPKT_PKT0_PS0_,"axG",@progbits,_Z30block_run_length_decode_kernelIdcLj256ELj1ELj14EEvPKT_PKT0_PS0_,comdat
	.protected	_Z30block_run_length_decode_kernelIdcLj256ELj1ELj14EEvPKT_PKT0_PS0_ ; -- Begin function _Z30block_run_length_decode_kernelIdcLj256ELj1ELj14EEvPKT_PKT0_PS0_
	.globl	_Z30block_run_length_decode_kernelIdcLj256ELj1ELj14EEvPKT_PKT0_PS0_
	.p2align	8
	.type	_Z30block_run_length_decode_kernelIdcLj256ELj1ELj14EEvPKT_PKT0_PS0_,@function
_Z30block_run_length_decode_kernelIdcLj256ELj1ELj14EEvPKT_PKT0_PS0_: ; @_Z30block_run_length_decode_kernelIdcLj256ELj1ELj14EEvPKT_PKT0_PS0_
; %bb.0:
	s_load_dwordx4 s[0:3], s[4:5], 0x0
	v_lshl_or_b32 v1, s6, 8, v0
	v_mov_b32_e32 v2, 0
	v_lshlrev_b64 v[2:3], 3, v[1:2]
	v_or_b32_e32 v7, 63, v0
	s_waitcnt lgkmcnt(0)
	global_load_sbyte v6, v1, s[2:3]
	v_mov_b32_e32 v4, s1
	v_add_co_u32_e32 v2, vcc, s0, v2
	v_addc_co_u32_e32 v3, vcc, v4, v3, vcc
	global_load_dwordx2 v[2:3], v[2:3], off
	v_mbcnt_lo_u32_b32 v4, -1, 0
	v_mbcnt_hi_u32_b32 v4, -1, v4
	v_and_b32_e32 v8, 15, v4
	v_cmp_ne_u32_e32 vcc, 0, v8
	v_bfe_i32 v9, v4, 4, 1
	v_lshrrev_b32_e32 v5, 6, v0
	s_waitcnt vmcnt(1)
	v_mov_b32_dpp v10, v6 row_shr:1 row_mask:0xf bank_mask:0xf
	v_cndmask_b32_e32 v10, 0, v10, vcc
	v_add_u32_e32 v6, v10, v6
	v_cmp_lt_u32_e32 vcc, 1, v8
	s_nop 0
	v_mov_b32_dpp v10, v6 row_shr:2 row_mask:0xf bank_mask:0xf
	v_cndmask_b32_e32 v10, 0, v10, vcc
	v_add_u32_e32 v6, v6, v10
	v_cmp_lt_u32_e32 vcc, 3, v8
	s_nop 0
	v_mov_b32_dpp v10, v6 row_shr:4 row_mask:0xf bank_mask:0xf
	v_cndmask_b32_e32 v10, 0, v10, vcc
	v_add_u32_e32 v6, v6, v10
	v_cmp_lt_u32_e32 vcc, 7, v8
	s_nop 0
	v_mov_b32_dpp v10, v6 row_shr:8 row_mask:0xf bank_mask:0xf
	v_cndmask_b32_e32 v8, 0, v10, vcc
	v_add_u32_e32 v6, v6, v8
	v_cmp_lt_u32_e32 vcc, 31, v4
	s_nop 0
	v_mov_b32_dpp v8, v6 row_bcast:15 row_mask:0xf bank_mask:0xf
	v_and_b32_e32 v8, v9, v8
	v_add_u32_e32 v6, v6, v8
	s_nop 1
	v_mov_b32_dpp v8, v6 row_bcast:31 row_mask:0xf bank_mask:0xf
	v_cndmask_b32_e32 v8, 0, v8, vcc
	v_add_u32_e32 v6, v6, v8
	v_cmp_eq_u32_e32 vcc, v0, v7
	s_and_saveexec_b64 s[0:1], vcc
; %bb.1:
	v_lshlrev_b32_e32 v7, 2, v5
	ds_write_b32 v7, v6
; %bb.2:
	s_or_b64 exec, exec, s[0:1]
	v_cmp_gt_u32_e32 vcc, 4, v0
	v_lshlrev_b32_e32 v7, 2, v0
	s_waitcnt vmcnt(0) lgkmcnt(0)
	s_barrier
	s_and_saveexec_b64 s[0:1], vcc
	s_cbranch_execz .LBB10_4
; %bb.3:
	ds_read_b32 v8, v7
	v_and_b32_e32 v9, 3, v4
	v_cmp_ne_u32_e32 vcc, 0, v9
	s_waitcnt lgkmcnt(0)
	v_mov_b32_dpp v10, v8 row_shr:1 row_mask:0xf bank_mask:0xf
	v_cndmask_b32_e32 v10, 0, v10, vcc
	v_add_u32_e32 v8, v10, v8
	v_cmp_lt_u32_e32 vcc, 1, v9
	s_nop 0
	v_mov_b32_dpp v10, v8 row_shr:2 row_mask:0xf bank_mask:0xf
	v_cndmask_b32_e32 v9, 0, v10, vcc
	v_add_u32_e32 v8, v8, v9
	ds_write_b32 v7, v8
.LBB10_4:
	s_or_b64 exec, exec, s[0:1]
	v_cmp_lt_u32_e32 vcc, 63, v0
	v_mov_b32_e32 v8, 0
	v_mov_b32_e32 v9, 0
	s_waitcnt lgkmcnt(0)
	s_barrier
	s_and_saveexec_b64 s[0:1], vcc
; %bb.5:
	v_lshl_add_u32 v5, v5, 2, -4
	ds_read_b32 v9, v5
; %bb.6:
	s_or_b64 exec, exec, s[0:1]
	s_waitcnt lgkmcnt(0)
	v_add_u32_e32 v5, v9, v6
	v_subrev_co_u32_e32 v6, vcc, 1, v4
	v_and_b32_e32 v10, 64, v4
	v_cmp_lt_i32_e64 s[0:1], v6, v10
	v_cndmask_b32_e64 v4, v6, v4, s[0:1]
	v_lshlrev_b32_e32 v4, 2, v4
	ds_bpermute_b32 v4, v4, v5
	ds_read_b32 v5, v8 offset:12
	v_lshlrev_b32_e32 v6, 3, v0
	s_waitcnt lgkmcnt(0)
	s_barrier
	v_cndmask_b32_e32 v4, v4, v9, vcc
	v_cmp_eq_u32_e32 vcc, 0, v5
	v_readfirstlane_b32 s6, v5
	ds_write_b64 v6, v[2:3]
	v_sub_u32_e32 v2, v6, v7
	s_and_b64 vcc, exec, vcc
	s_mov_b32 s1, 0
	ds_write_b32 v2, v4 offset:2048
	s_waitcnt lgkmcnt(0)
	s_barrier
	s_cbranch_vccnz .LBB10_115
; %bb.7:
	v_mul_lo_u32 v1, v1, 14
	s_load_dwordx2 s[2:3], s[4:5], 0x10
	v_mov_b32_e32 v2, 0
	ds_read_b32 v32, v2 offset:2560
	v_lshlrev_b64 v[2:3], 3, v[1:2]
	v_mul_u32_u24_e32 v0, 14, v0
	s_waitcnt lgkmcnt(0)
	v_mov_b32_e32 v4, s3
	v_add_co_u32_e32 v33, vcc, s2, v2
	v_addc_co_u32_e32 v34, vcc, v4, v3, vcc
	v_add_u32_e32 v35, 6, v1
	v_add_u32_e32 v36, 7, v1
	;; [unrolled: 1-line block ×8, first 2 shown]
	v_mov_b32_e32 v43, 0x81
	s_movk_i32 s7, 0xff
	s_mov_b32 s8, s6
	s_mov_b32 s0, s1
	v_mov_b32_e32 v44, 0x100
	v_mov_b32_e32 v45, 0x80
	;; [unrolled: 1-line block ×3, first 2 shown]
	s_branch .LBB10_9
.LBB10_8:                               ;   in Loop: Header=BB10_9 Depth=1
	s_or_b64 exec, exec, s[2:3]
	s_addk_i32 s0, 0xe00
	s_addk_i32 s8, 0xf200
	s_cmp_lt_u32 s0, s6
	s_cbranch_scc0 .LBB10_115
.LBB10_9:                               ; =>This Inner Loop Header: Depth=1
	s_waitcnt lgkmcnt(0)
	v_add_u32_e32 v28, s0, v0
	v_cmp_lt_u32_e32 vcc, v28, v32
	v_cndmask_b32_e64 v3, v46, 64, vcc
	v_lshlrev_b32_e32 v4, 2, v3
	ds_read_b32 v4, v4 offset:2048
	v_cndmask_b32_e64 v2, v43, 0, vcc
	v_cndmask_b32_e32 v5, v44, v45, vcc
	v_or_b32_e32 v6, 1, v3
	s_waitcnt lgkmcnt(0)
	v_cmp_lt_u32_e32 vcc, v28, v4
	v_cndmask_b32_e32 v2, v6, v2, vcc
	v_cndmask_b32_e32 v3, v5, v3, vcc
	v_sub_u32_e32 v4, v3, v2
	v_lshrrev_b16_e32 v5, 15, v4
	v_add_u16_e32 v4, v4, v5
	v_ashrrev_i16_e32 v4, 1, v4
	v_add_u32_sdwa v4, v2, sext(v4) dst_sel:DWORD dst_unused:UNUSED_PAD src0_sel:DWORD src1_sel:WORD_0
	v_min_i32_e32 v4, 0xff, v4
	v_lshlrev_b32_e32 v5, 2, v4
	ds_read_b32 v5, v5 offset:2048
	v_add_u32_e32 v6, 1, v4
	s_waitcnt lgkmcnt(0)
	v_cmp_lt_u32_e32 vcc, v28, v5
	v_cndmask_b32_e32 v2, v6, v2, vcc
	v_cndmask_b32_e32 v3, v3, v4, vcc
	v_sub_u32_e32 v4, v3, v2
	v_lshrrev_b16_e32 v5, 15, v4
	v_add_u16_e32 v4, v4, v5
	v_ashrrev_i16_e32 v4, 1, v4
	v_add_u32_sdwa v4, v2, sext(v4) dst_sel:DWORD dst_unused:UNUSED_PAD src0_sel:DWORD src1_sel:WORD_0
	v_min_i32_e32 v4, 0xff, v4
	v_lshlrev_b32_e32 v5, 2, v4
	ds_read_b32 v5, v5 offset:2048
	v_add_u32_e32 v6, 1, v4
	;; [unrolled: 13-line block ×7, first 2 shown]
	s_waitcnt lgkmcnt(0)
	v_cmp_lt_u32_e32 vcc, v28, v4
	v_cndmask_b32_e32 v6, v3, v2, vcc
	v_add_u32_e32 v30, -1, v6
	v_cmp_ne_u32_e32 vcc, s7, v30
                                        ; implicit-def: $vgpr4
	s_and_saveexec_b64 s[2:3], vcc
	s_xor_b64 s[2:3], exec, s[2:3]
; %bb.10:                               ;   in Loop: Header=BB10_9 Depth=1
	v_lshlrev_b32_e32 v2, 2, v6
	ds_read_b32 v4, v2 offset:2048
; %bb.11:                               ;   in Loop: Header=BB10_9 Depth=1
	s_andn2_saveexec_b64 s[2:3], s[2:3]
	s_cbranch_execz .LBB10_13
; %bb.12:                               ;   in Loop: Header=BB10_9 Depth=1
	s_waitcnt lgkmcnt(0)
	v_add_u32_e32 v4, 14, v28
.LBB10_13:                              ;   in Loop: Header=BB10_9 Depth=1
	s_or_b64 exec, exec, s[2:3]
	v_lshlrev_b32_e32 v2, 3, v30
	ds_read_b64 v[2:3], v2
	s_waitcnt lgkmcnt(1)
	v_add_u32_e32 v29, -1, v4
	v_cmp_eq_u32_e32 vcc, v28, v29
	s_waitcnt lgkmcnt(0)
	v_mov_b32_e32 v5, v3
	v_mov_b32_e32 v4, v2
	s_and_saveexec_b64 s[2:3], vcc
	s_cbranch_execz .LBB10_19
; %bb.14:                               ;   in Loop: Header=BB10_9 Depth=1
	v_cmp_ne_u32_e32 vcc, s7, v6
                                        ; implicit-def: $vgpr7
	s_and_saveexec_b64 s[4:5], vcc
	s_xor_b64 s[4:5], exec, s[4:5]
; %bb.15:                               ;   in Loop: Header=BB10_9 Depth=1
	v_lshlrev_b32_e32 v4, 2, v6
	ds_read_b32 v7, v4 offset:2052
; %bb.16:                               ;   in Loop: Header=BB10_9 Depth=1
	s_andn2_saveexec_b64 s[4:5], s[4:5]
	s_cbranch_execz .LBB10_18
; %bb.17:                               ;   in Loop: Header=BB10_9 Depth=1
	s_waitcnt lgkmcnt(0)
	v_add_u32_e32 v7, 14, v28
.LBB10_18:                              ;   in Loop: Header=BB10_9 Depth=1
	s_or_b64 exec, exec, s[4:5]
	v_lshlrev_b32_e32 v4, 3, v6
	ds_read_b64 v[4:5], v4
	s_waitcnt lgkmcnt(1)
	v_add_u32_e32 v29, -1, v7
	v_mov_b32_e32 v30, v6
.LBB10_19:                              ;   in Loop: Header=BB10_9 Depth=1
	s_or_b64 exec, exec, s[2:3]
	v_add_u32_e32 v6, 1, v28
	v_cmp_eq_u32_e32 vcc, v6, v29
	s_waitcnt lgkmcnt(0)
	v_mov_b32_e32 v7, v5
	v_mov_b32_e32 v6, v4
	s_and_saveexec_b64 s[2:3], vcc
	s_cbranch_execz .LBB10_25
; %bb.20:                               ;   in Loop: Header=BB10_9 Depth=1
	v_add_u32_e32 v8, 1, v30
	v_cmp_ne_u32_e32 vcc, s7, v8
                                        ; implicit-def: $vgpr9
	s_and_saveexec_b64 s[4:5], vcc
	s_xor_b64 s[4:5], exec, s[4:5]
; %bb.21:                               ;   in Loop: Header=BB10_9 Depth=1
	v_lshlrev_b32_e32 v6, 2, v30
	ds_read_b32 v9, v6 offset:2056
; %bb.22:                               ;   in Loop: Header=BB10_9 Depth=1
	s_andn2_saveexec_b64 s[4:5], s[4:5]
	s_cbranch_execz .LBB10_24
; %bb.23:                               ;   in Loop: Header=BB10_9 Depth=1
	s_waitcnt lgkmcnt(0)
	v_add_u32_e32 v9, 15, v28
.LBB10_24:                              ;   in Loop: Header=BB10_9 Depth=1
	s_or_b64 exec, exec, s[4:5]
	v_lshlrev_b32_e32 v6, 3, v30
	ds_read_b64 v[6:7], v6 offset:8
	s_waitcnt lgkmcnt(1)
	v_add_u32_e32 v29, -1, v9
	v_mov_b32_e32 v30, v8
.LBB10_25:                              ;   in Loop: Header=BB10_9 Depth=1
	s_or_b64 exec, exec, s[2:3]
	v_add_u32_e32 v8, 2, v28
	v_cmp_eq_u32_e32 vcc, v8, v29
	s_waitcnt lgkmcnt(0)
	v_mov_b32_e32 v9, v7
	v_mov_b32_e32 v8, v6
	s_and_saveexec_b64 s[2:3], vcc
	s_cbranch_execz .LBB10_31
; %bb.26:                               ;   in Loop: Header=BB10_9 Depth=1
	v_add_u32_e32 v10, 1, v30
	v_cmp_ne_u32_e32 vcc, s7, v10
                                        ; implicit-def: $vgpr11
	s_and_saveexec_b64 s[4:5], vcc
	s_xor_b64 s[4:5], exec, s[4:5]
; %bb.27:                               ;   in Loop: Header=BB10_9 Depth=1
	v_lshlrev_b32_e32 v8, 2, v30
	ds_read_b32 v11, v8 offset:2056
; %bb.28:                               ;   in Loop: Header=BB10_9 Depth=1
	s_andn2_saveexec_b64 s[4:5], s[4:5]
	s_cbranch_execz .LBB10_30
; %bb.29:                               ;   in Loop: Header=BB10_9 Depth=1
	s_waitcnt lgkmcnt(0)
	v_add_u32_e32 v11, 16, v28
.LBB10_30:                              ;   in Loop: Header=BB10_9 Depth=1
	s_or_b64 exec, exec, s[4:5]
	v_lshlrev_b32_e32 v8, 3, v30
	ds_read_b64 v[8:9], v8 offset:8
	s_waitcnt lgkmcnt(1)
	v_add_u32_e32 v29, -1, v11
	v_mov_b32_e32 v30, v10
.LBB10_31:                              ;   in Loop: Header=BB10_9 Depth=1
	s_or_b64 exec, exec, s[2:3]
	v_add_u32_e32 v10, 3, v28
	v_cmp_eq_u32_e32 vcc, v10, v29
	s_waitcnt lgkmcnt(0)
	v_mov_b32_e32 v11, v9
	v_mov_b32_e32 v10, v8
	s_and_saveexec_b64 s[2:3], vcc
	s_cbranch_execz .LBB10_37
; %bb.32:                               ;   in Loop: Header=BB10_9 Depth=1
	v_add_u32_e32 v12, 1, v30
	v_cmp_ne_u32_e32 vcc, s7, v12
                                        ; implicit-def: $vgpr13
	s_and_saveexec_b64 s[4:5], vcc
	s_xor_b64 s[4:5], exec, s[4:5]
; %bb.33:                               ;   in Loop: Header=BB10_9 Depth=1
	v_lshlrev_b32_e32 v10, 2, v30
	ds_read_b32 v13, v10 offset:2056
; %bb.34:                               ;   in Loop: Header=BB10_9 Depth=1
	s_andn2_saveexec_b64 s[4:5], s[4:5]
	s_cbranch_execz .LBB10_36
; %bb.35:                               ;   in Loop: Header=BB10_9 Depth=1
	s_waitcnt lgkmcnt(0)
	v_add_u32_e32 v13, 17, v28
.LBB10_36:                              ;   in Loop: Header=BB10_9 Depth=1
	s_or_b64 exec, exec, s[4:5]
	v_lshlrev_b32_e32 v10, 3, v30
	ds_read_b64 v[10:11], v10 offset:8
	s_waitcnt lgkmcnt(1)
	v_add_u32_e32 v29, -1, v13
	v_mov_b32_e32 v30, v12
.LBB10_37:                              ;   in Loop: Header=BB10_9 Depth=1
	s_or_b64 exec, exec, s[2:3]
	v_add_u32_e32 v12, 4, v28
	v_cmp_eq_u32_e32 vcc, v12, v29
	s_waitcnt lgkmcnt(0)
	v_mov_b32_e32 v13, v11
	v_mov_b32_e32 v12, v10
	s_and_saveexec_b64 s[2:3], vcc
	s_cbranch_execz .LBB10_43
; %bb.38:                               ;   in Loop: Header=BB10_9 Depth=1
	v_add_u32_e32 v14, 1, v30
	v_cmp_ne_u32_e32 vcc, s7, v14
                                        ; implicit-def: $vgpr15
	s_and_saveexec_b64 s[4:5], vcc
	s_xor_b64 s[4:5], exec, s[4:5]
; %bb.39:                               ;   in Loop: Header=BB10_9 Depth=1
	v_lshlrev_b32_e32 v12, 2, v30
	ds_read_b32 v15, v12 offset:2056
; %bb.40:                               ;   in Loop: Header=BB10_9 Depth=1
	s_andn2_saveexec_b64 s[4:5], s[4:5]
	s_cbranch_execz .LBB10_42
; %bb.41:                               ;   in Loop: Header=BB10_9 Depth=1
	s_waitcnt lgkmcnt(0)
	v_add_u32_e32 v15, 18, v28
.LBB10_42:                              ;   in Loop: Header=BB10_9 Depth=1
	s_or_b64 exec, exec, s[4:5]
	v_lshlrev_b32_e32 v12, 3, v30
	ds_read_b64 v[12:13], v12 offset:8
	s_waitcnt lgkmcnt(1)
	v_add_u32_e32 v29, -1, v15
	v_mov_b32_e32 v30, v14
.LBB10_43:                              ;   in Loop: Header=BB10_9 Depth=1
	s_or_b64 exec, exec, s[2:3]
	v_add_u32_e32 v14, 5, v28
	v_cmp_eq_u32_e32 vcc, v14, v29
	s_waitcnt lgkmcnt(0)
	v_mov_b32_e32 v15, v13
	v_mov_b32_e32 v14, v12
	s_and_saveexec_b64 s[2:3], vcc
	s_cbranch_execz .LBB10_49
; %bb.44:                               ;   in Loop: Header=BB10_9 Depth=1
	v_add_u32_e32 v16, 1, v30
	v_cmp_ne_u32_e32 vcc, s7, v16
                                        ; implicit-def: $vgpr17
	s_and_saveexec_b64 s[4:5], vcc
	s_xor_b64 s[4:5], exec, s[4:5]
; %bb.45:                               ;   in Loop: Header=BB10_9 Depth=1
	v_lshlrev_b32_e32 v14, 2, v30
	ds_read_b32 v17, v14 offset:2056
; %bb.46:                               ;   in Loop: Header=BB10_9 Depth=1
	s_andn2_saveexec_b64 s[4:5], s[4:5]
	s_cbranch_execz .LBB10_48
; %bb.47:                               ;   in Loop: Header=BB10_9 Depth=1
	s_waitcnt lgkmcnt(0)
	v_add_u32_e32 v17, 19, v28
.LBB10_48:                              ;   in Loop: Header=BB10_9 Depth=1
	s_or_b64 exec, exec, s[4:5]
	v_lshlrev_b32_e32 v14, 3, v30
	ds_read_b64 v[14:15], v14 offset:8
	s_waitcnt lgkmcnt(1)
	v_add_u32_e32 v29, -1, v17
	v_mov_b32_e32 v30, v16
.LBB10_49:                              ;   in Loop: Header=BB10_9 Depth=1
	s_or_b64 exec, exec, s[2:3]
	v_add_u32_e32 v16, 6, v28
	v_cmp_eq_u32_e32 vcc, v16, v29
	s_waitcnt lgkmcnt(0)
	v_mov_b32_e32 v17, v15
	v_mov_b32_e32 v16, v14
	s_and_saveexec_b64 s[2:3], vcc
	s_cbranch_execz .LBB10_55
; %bb.50:                               ;   in Loop: Header=BB10_9 Depth=1
	v_add_u32_e32 v18, 1, v30
	v_cmp_ne_u32_e32 vcc, s7, v18
                                        ; implicit-def: $vgpr19
	s_and_saveexec_b64 s[4:5], vcc
	s_xor_b64 s[4:5], exec, s[4:5]
; %bb.51:                               ;   in Loop: Header=BB10_9 Depth=1
	v_lshlrev_b32_e32 v16, 2, v30
	ds_read_b32 v19, v16 offset:2056
; %bb.52:                               ;   in Loop: Header=BB10_9 Depth=1
	s_andn2_saveexec_b64 s[4:5], s[4:5]
	s_cbranch_execz .LBB10_54
; %bb.53:                               ;   in Loop: Header=BB10_9 Depth=1
	s_waitcnt lgkmcnt(0)
	v_add_u32_e32 v19, 20, v28
.LBB10_54:                              ;   in Loop: Header=BB10_9 Depth=1
	s_or_b64 exec, exec, s[4:5]
	v_lshlrev_b32_e32 v16, 3, v30
	ds_read_b64 v[16:17], v16 offset:8
	s_waitcnt lgkmcnt(1)
	v_add_u32_e32 v29, -1, v19
	v_mov_b32_e32 v30, v18
.LBB10_55:                              ;   in Loop: Header=BB10_9 Depth=1
	s_or_b64 exec, exec, s[2:3]
	v_add_u32_e32 v18, 7, v28
	v_cmp_eq_u32_e32 vcc, v18, v29
	s_waitcnt lgkmcnt(0)
	v_mov_b32_e32 v19, v17
	v_mov_b32_e32 v18, v16
	s_and_saveexec_b64 s[2:3], vcc
	s_cbranch_execz .LBB10_61
; %bb.56:                               ;   in Loop: Header=BB10_9 Depth=1
	v_add_u32_e32 v20, 1, v30
	v_cmp_ne_u32_e32 vcc, s7, v20
                                        ; implicit-def: $vgpr21
	s_and_saveexec_b64 s[4:5], vcc
	s_xor_b64 s[4:5], exec, s[4:5]
; %bb.57:                               ;   in Loop: Header=BB10_9 Depth=1
	v_lshlrev_b32_e32 v18, 2, v30
	ds_read_b32 v21, v18 offset:2056
; %bb.58:                               ;   in Loop: Header=BB10_9 Depth=1
	s_andn2_saveexec_b64 s[4:5], s[4:5]
	s_cbranch_execz .LBB10_60
; %bb.59:                               ;   in Loop: Header=BB10_9 Depth=1
	s_waitcnt lgkmcnt(0)
	v_add_u32_e32 v21, 21, v28
.LBB10_60:                              ;   in Loop: Header=BB10_9 Depth=1
	s_or_b64 exec, exec, s[4:5]
	v_lshlrev_b32_e32 v18, 3, v30
	ds_read_b64 v[18:19], v18 offset:8
	s_waitcnt lgkmcnt(1)
	v_add_u32_e32 v29, -1, v21
	v_mov_b32_e32 v30, v20
.LBB10_61:                              ;   in Loop: Header=BB10_9 Depth=1
	s_or_b64 exec, exec, s[2:3]
	v_add_u32_e32 v20, 8, v28
	v_cmp_eq_u32_e32 vcc, v20, v29
	s_waitcnt lgkmcnt(0)
	v_mov_b32_e32 v21, v19
	v_mov_b32_e32 v20, v18
	s_and_saveexec_b64 s[2:3], vcc
	s_cbranch_execz .LBB10_67
; %bb.62:                               ;   in Loop: Header=BB10_9 Depth=1
	v_add_u32_e32 v22, 1, v30
	v_cmp_ne_u32_e32 vcc, s7, v22
                                        ; implicit-def: $vgpr23
	s_and_saveexec_b64 s[4:5], vcc
	s_xor_b64 s[4:5], exec, s[4:5]
; %bb.63:                               ;   in Loop: Header=BB10_9 Depth=1
	v_lshlrev_b32_e32 v20, 2, v30
	ds_read_b32 v23, v20 offset:2056
; %bb.64:                               ;   in Loop: Header=BB10_9 Depth=1
	s_andn2_saveexec_b64 s[4:5], s[4:5]
	s_cbranch_execz .LBB10_66
; %bb.65:                               ;   in Loop: Header=BB10_9 Depth=1
	s_waitcnt lgkmcnt(0)
	v_add_u32_e32 v23, 22, v28
.LBB10_66:                              ;   in Loop: Header=BB10_9 Depth=1
	s_or_b64 exec, exec, s[4:5]
	v_lshlrev_b32_e32 v20, 3, v30
	ds_read_b64 v[20:21], v20 offset:8
	s_waitcnt lgkmcnt(1)
	v_add_u32_e32 v29, -1, v23
	v_mov_b32_e32 v30, v22
.LBB10_67:                              ;   in Loop: Header=BB10_9 Depth=1
	s_or_b64 exec, exec, s[2:3]
	v_add_u32_e32 v22, 9, v28
	v_cmp_eq_u32_e32 vcc, v22, v29
	s_waitcnt lgkmcnt(0)
	v_mov_b32_e32 v23, v21
	v_mov_b32_e32 v22, v20
	s_and_saveexec_b64 s[2:3], vcc
	s_cbranch_execz .LBB10_73
; %bb.68:                               ;   in Loop: Header=BB10_9 Depth=1
	v_add_u32_e32 v24, 1, v30
	v_cmp_ne_u32_e32 vcc, s7, v24
                                        ; implicit-def: $vgpr25
	s_and_saveexec_b64 s[4:5], vcc
	s_xor_b64 s[4:5], exec, s[4:5]
; %bb.69:                               ;   in Loop: Header=BB10_9 Depth=1
	v_lshlrev_b32_e32 v22, 2, v30
	ds_read_b32 v25, v22 offset:2056
; %bb.70:                               ;   in Loop: Header=BB10_9 Depth=1
	s_andn2_saveexec_b64 s[4:5], s[4:5]
	s_cbranch_execz .LBB10_72
; %bb.71:                               ;   in Loop: Header=BB10_9 Depth=1
	s_waitcnt lgkmcnt(0)
	v_add_u32_e32 v25, 23, v28
.LBB10_72:                              ;   in Loop: Header=BB10_9 Depth=1
	s_or_b64 exec, exec, s[4:5]
	v_lshlrev_b32_e32 v22, 3, v30
	ds_read_b64 v[22:23], v22 offset:8
	s_waitcnt lgkmcnt(1)
	v_add_u32_e32 v29, -1, v25
	v_mov_b32_e32 v30, v24
.LBB10_73:                              ;   in Loop: Header=BB10_9 Depth=1
	s_or_b64 exec, exec, s[2:3]
	v_add_u32_e32 v24, 10, v28
	v_cmp_eq_u32_e32 vcc, v24, v29
	s_waitcnt lgkmcnt(0)
	v_mov_b32_e32 v25, v23
	v_mov_b32_e32 v24, v22
	s_and_saveexec_b64 s[2:3], vcc
	s_cbranch_execz .LBB10_79
; %bb.74:                               ;   in Loop: Header=BB10_9 Depth=1
	v_add_u32_e32 v26, 1, v30
	v_cmp_ne_u32_e32 vcc, s7, v26
                                        ; implicit-def: $vgpr27
	s_and_saveexec_b64 s[4:5], vcc
	s_xor_b64 s[4:5], exec, s[4:5]
; %bb.75:                               ;   in Loop: Header=BB10_9 Depth=1
	v_lshlrev_b32_e32 v24, 2, v30
	ds_read_b32 v27, v24 offset:2056
; %bb.76:                               ;   in Loop: Header=BB10_9 Depth=1
	s_andn2_saveexec_b64 s[4:5], s[4:5]
	s_cbranch_execz .LBB10_78
; %bb.77:                               ;   in Loop: Header=BB10_9 Depth=1
	s_waitcnt lgkmcnt(0)
	v_add_u32_e32 v27, 24, v28
.LBB10_78:                              ;   in Loop: Header=BB10_9 Depth=1
	s_or_b64 exec, exec, s[4:5]
	v_lshlrev_b32_e32 v24, 3, v30
	ds_read_b64 v[24:25], v24 offset:8
	s_waitcnt lgkmcnt(1)
	v_add_u32_e32 v29, -1, v27
	v_mov_b32_e32 v30, v26
.LBB10_79:                              ;   in Loop: Header=BB10_9 Depth=1
	s_or_b64 exec, exec, s[2:3]
	v_add_u32_e32 v26, 11, v28
	v_cmp_eq_u32_e32 vcc, v26, v29
	s_waitcnt lgkmcnt(0)
	v_mov_b32_e32 v27, v25
	v_mov_b32_e32 v26, v24
	s_and_saveexec_b64 s[2:3], vcc
	s_cbranch_execz .LBB10_85
; %bb.80:                               ;   in Loop: Header=BB10_9 Depth=1
	v_add_u32_e32 v31, 1, v30
	v_cmp_ne_u32_e32 vcc, s7, v31
                                        ; implicit-def: $vgpr29
	s_and_saveexec_b64 s[4:5], vcc
	s_xor_b64 s[4:5], exec, s[4:5]
; %bb.81:                               ;   in Loop: Header=BB10_9 Depth=1
	v_lshlrev_b32_e32 v26, 2, v30
	ds_read_b32 v29, v26 offset:2056
; %bb.82:                               ;   in Loop: Header=BB10_9 Depth=1
	s_andn2_saveexec_b64 s[4:5], s[4:5]
	s_cbranch_execz .LBB10_84
; %bb.83:                               ;   in Loop: Header=BB10_9 Depth=1
	s_waitcnt lgkmcnt(0)
	v_add_u32_e32 v29, 25, v28
.LBB10_84:                              ;   in Loop: Header=BB10_9 Depth=1
	s_or_b64 exec, exec, s[4:5]
	v_lshlrev_b32_e32 v26, 3, v30
	ds_read_b64 v[26:27], v26 offset:8
	s_waitcnt lgkmcnt(1)
	v_add_u32_e32 v29, -1, v29
	v_mov_b32_e32 v30, v31
.LBB10_85:                              ;   in Loop: Header=BB10_9 Depth=1
	s_or_b64 exec, exec, s[2:3]
	v_add_u32_e32 v28, 12, v28
	v_cmp_eq_u32_e32 vcc, v28, v29
	s_waitcnt lgkmcnt(0)
	v_mov_b32_e32 v29, v27
	v_mov_b32_e32 v28, v26
	s_and_saveexec_b64 s[2:3], vcc
; %bb.86:                               ;   in Loop: Header=BB10_9 Depth=1
	v_lshlrev_b32_e32 v28, 3, v30
	ds_read_b64 v[28:29], v28 offset:8
; %bb.87:                               ;   in Loop: Header=BB10_9 Depth=1
	s_or_b64 exec, exec, s[2:3]
	s_lshl_b64 s[2:3], s[0:1], 3
	v_mov_b32_e32 v31, s3
	v_add_co_u32_e32 v30, vcc, s2, v33
	s_min_u32 s4, s8, 0xe00
	v_addc_co_u32_e32 v31, vcc, v34, v31, vcc
	v_cmp_gt_u32_e32 vcc, s4, v1
	s_and_saveexec_b64 s[2:3], vcc
	s_cbranch_execz .LBB10_89
; %bb.88:                               ;   in Loop: Header=BB10_9 Depth=1
	global_store_dwordx2 v[30:31], v[2:3], off
.LBB10_89:                              ;   in Loop: Header=BB10_9 Depth=1
	s_or_b64 exec, exec, s[2:3]
	v_or_b32_e32 v2, 1, v1
	v_cmp_gt_u32_e32 vcc, s4, v2
	s_and_saveexec_b64 s[2:3], vcc
	s_cbranch_execz .LBB10_91
; %bb.90:                               ;   in Loop: Header=BB10_9 Depth=1
	global_store_dwordx2 v[30:31], v[4:5], off offset:8
.LBB10_91:                              ;   in Loop: Header=BB10_9 Depth=1
	s_or_b64 exec, exec, s[2:3]
	v_add_u32_e32 v2, 2, v1
	v_cmp_gt_u32_e32 vcc, s4, v2
	s_and_saveexec_b64 s[2:3], vcc
	s_cbranch_execz .LBB10_93
; %bb.92:                               ;   in Loop: Header=BB10_9 Depth=1
	global_store_dwordx2 v[30:31], v[6:7], off offset:16
.LBB10_93:                              ;   in Loop: Header=BB10_9 Depth=1
	s_or_b64 exec, exec, s[2:3]
	v_add_u32_e32 v2, 3, v1
	;; [unrolled: 8-line block ×4, first 2 shown]
	v_cmp_gt_u32_e32 vcc, s4, v2
	s_and_saveexec_b64 s[2:3], vcc
	s_cbranch_execnz .LBB10_106
; %bb.98:                               ;   in Loop: Header=BB10_9 Depth=1
	s_or_b64 exec, exec, s[2:3]
	v_cmp_gt_u32_e32 vcc, s4, v35
	s_and_saveexec_b64 s[2:3], vcc
	s_cbranch_execnz .LBB10_107
.LBB10_99:                              ;   in Loop: Header=BB10_9 Depth=1
	s_or_b64 exec, exec, s[2:3]
	v_cmp_gt_u32_e32 vcc, s4, v36
	s_and_saveexec_b64 s[2:3], vcc
	s_cbranch_execnz .LBB10_108
.LBB10_100:                             ;   in Loop: Header=BB10_9 Depth=1
	s_or_b64 exec, exec, s[2:3]
	v_cmp_gt_u32_e32 vcc, s4, v37
	s_and_saveexec_b64 s[2:3], vcc
	s_cbranch_execnz .LBB10_109
.LBB10_101:                             ;   in Loop: Header=BB10_9 Depth=1
	s_or_b64 exec, exec, s[2:3]
	v_cmp_gt_u32_e32 vcc, s4, v38
	s_and_saveexec_b64 s[2:3], vcc
	s_cbranch_execnz .LBB10_110
.LBB10_102:                             ;   in Loop: Header=BB10_9 Depth=1
	s_or_b64 exec, exec, s[2:3]
	v_cmp_gt_u32_e32 vcc, s4, v39
	s_and_saveexec_b64 s[2:3], vcc
	s_cbranch_execnz .LBB10_111
.LBB10_103:                             ;   in Loop: Header=BB10_9 Depth=1
	s_or_b64 exec, exec, s[2:3]
	v_cmp_gt_u32_e32 vcc, s4, v40
	s_and_saveexec_b64 s[2:3], vcc
	s_cbranch_execnz .LBB10_112
.LBB10_104:                             ;   in Loop: Header=BB10_9 Depth=1
	s_or_b64 exec, exec, s[2:3]
	v_cmp_gt_u32_e32 vcc, s4, v41
	s_and_saveexec_b64 s[2:3], vcc
	s_cbranch_execnz .LBB10_113
.LBB10_105:                             ;   in Loop: Header=BB10_9 Depth=1
	s_or_b64 exec, exec, s[2:3]
	v_cmp_gt_u32_e32 vcc, s4, v42
	s_and_saveexec_b64 s[2:3], vcc
	s_cbranch_execz .LBB10_8
	s_branch .LBB10_114
.LBB10_106:                             ;   in Loop: Header=BB10_9 Depth=1
	global_store_dwordx2 v[30:31], v[12:13], off offset:40
	s_or_b64 exec, exec, s[2:3]
	v_cmp_gt_u32_e32 vcc, s4, v35
	s_and_saveexec_b64 s[2:3], vcc
	s_cbranch_execz .LBB10_99
.LBB10_107:                             ;   in Loop: Header=BB10_9 Depth=1
	global_store_dwordx2 v[30:31], v[14:15], off offset:48
	s_or_b64 exec, exec, s[2:3]
	v_cmp_gt_u32_e32 vcc, s4, v36
	s_and_saveexec_b64 s[2:3], vcc
	s_cbranch_execz .LBB10_100
.LBB10_108:                             ;   in Loop: Header=BB10_9 Depth=1
	global_store_dwordx2 v[30:31], v[16:17], off offset:56
	s_or_b64 exec, exec, s[2:3]
	v_cmp_gt_u32_e32 vcc, s4, v37
	s_and_saveexec_b64 s[2:3], vcc
	s_cbranch_execz .LBB10_101
.LBB10_109:                             ;   in Loop: Header=BB10_9 Depth=1
	global_store_dwordx2 v[30:31], v[18:19], off offset:64
	s_or_b64 exec, exec, s[2:3]
	v_cmp_gt_u32_e32 vcc, s4, v38
	s_and_saveexec_b64 s[2:3], vcc
	s_cbranch_execz .LBB10_102
.LBB10_110:                             ;   in Loop: Header=BB10_9 Depth=1
	global_store_dwordx2 v[30:31], v[20:21], off offset:72
	s_or_b64 exec, exec, s[2:3]
	v_cmp_gt_u32_e32 vcc, s4, v39
	s_and_saveexec_b64 s[2:3], vcc
	s_cbranch_execz .LBB10_103
.LBB10_111:                             ;   in Loop: Header=BB10_9 Depth=1
	global_store_dwordx2 v[30:31], v[22:23], off offset:80
	s_or_b64 exec, exec, s[2:3]
	v_cmp_gt_u32_e32 vcc, s4, v40
	s_and_saveexec_b64 s[2:3], vcc
	s_cbranch_execz .LBB10_104
.LBB10_112:                             ;   in Loop: Header=BB10_9 Depth=1
	global_store_dwordx2 v[30:31], v[24:25], off offset:88
	s_or_b64 exec, exec, s[2:3]
	v_cmp_gt_u32_e32 vcc, s4, v41
	s_and_saveexec_b64 s[2:3], vcc
	s_cbranch_execz .LBB10_105
.LBB10_113:                             ;   in Loop: Header=BB10_9 Depth=1
	global_store_dwordx2 v[30:31], v[26:27], off offset:96
	s_or_b64 exec, exec, s[2:3]
	v_cmp_gt_u32_e32 vcc, s4, v42
	s_and_saveexec_b64 s[2:3], vcc
	s_cbranch_execz .LBB10_8
.LBB10_114:                             ;   in Loop: Header=BB10_9 Depth=1
	s_waitcnt lgkmcnt(0)
	global_store_dwordx2 v[30:31], v[28:29], off offset:104
	s_branch .LBB10_8
.LBB10_115:
	s_endpgm
	.section	.rodata,"a",@progbits
	.p2align	6, 0x0
	.amdhsa_kernel _Z30block_run_length_decode_kernelIdcLj256ELj1ELj14EEvPKT_PKT0_PS0_
		.amdhsa_group_segment_fixed_size 3072
		.amdhsa_private_segment_fixed_size 0
		.amdhsa_kernarg_size 24
		.amdhsa_user_sgpr_count 6
		.amdhsa_user_sgpr_private_segment_buffer 1
		.amdhsa_user_sgpr_dispatch_ptr 0
		.amdhsa_user_sgpr_queue_ptr 0
		.amdhsa_user_sgpr_kernarg_segment_ptr 1
		.amdhsa_user_sgpr_dispatch_id 0
		.amdhsa_user_sgpr_flat_scratch_init 0
		.amdhsa_user_sgpr_private_segment_size 0
		.amdhsa_uses_dynamic_stack 0
		.amdhsa_system_sgpr_private_segment_wavefront_offset 0
		.amdhsa_system_sgpr_workgroup_id_x 1
		.amdhsa_system_sgpr_workgroup_id_y 0
		.amdhsa_system_sgpr_workgroup_id_z 0
		.amdhsa_system_sgpr_workgroup_info 0
		.amdhsa_system_vgpr_workitem_id 0
		.amdhsa_next_free_vgpr 47
		.amdhsa_next_free_sgpr 9
		.amdhsa_reserve_vcc 1
		.amdhsa_reserve_flat_scratch 0
		.amdhsa_float_round_mode_32 0
		.amdhsa_float_round_mode_16_64 0
		.amdhsa_float_denorm_mode_32 3
		.amdhsa_float_denorm_mode_16_64 3
		.amdhsa_dx10_clamp 1
		.amdhsa_ieee_mode 1
		.amdhsa_fp16_overflow 0
		.amdhsa_exception_fp_ieee_invalid_op 0
		.amdhsa_exception_fp_denorm_src 0
		.amdhsa_exception_fp_ieee_div_zero 0
		.amdhsa_exception_fp_ieee_overflow 0
		.amdhsa_exception_fp_ieee_underflow 0
		.amdhsa_exception_fp_ieee_inexact 0
		.amdhsa_exception_int_div_zero 0
	.end_amdhsa_kernel
	.section	.text._Z30block_run_length_decode_kernelIdcLj256ELj1ELj14EEvPKT_PKT0_PS0_,"axG",@progbits,_Z30block_run_length_decode_kernelIdcLj256ELj1ELj14EEvPKT_PKT0_PS0_,comdat
.Lfunc_end10:
	.size	_Z30block_run_length_decode_kernelIdcLj256ELj1ELj14EEvPKT_PKT0_PS0_, .Lfunc_end10-_Z30block_run_length_decode_kernelIdcLj256ELj1ELj14EEvPKT_PKT0_PS0_
                                        ; -- End function
	.set _Z30block_run_length_decode_kernelIdcLj256ELj1ELj14EEvPKT_PKT0_PS0_.num_vgpr, 47
	.set _Z30block_run_length_decode_kernelIdcLj256ELj1ELj14EEvPKT_PKT0_PS0_.num_agpr, 0
	.set _Z30block_run_length_decode_kernelIdcLj256ELj1ELj14EEvPKT_PKT0_PS0_.numbered_sgpr, 9
	.set _Z30block_run_length_decode_kernelIdcLj256ELj1ELj14EEvPKT_PKT0_PS0_.num_named_barrier, 0
	.set _Z30block_run_length_decode_kernelIdcLj256ELj1ELj14EEvPKT_PKT0_PS0_.private_seg_size, 0
	.set _Z30block_run_length_decode_kernelIdcLj256ELj1ELj14EEvPKT_PKT0_PS0_.uses_vcc, 1
	.set _Z30block_run_length_decode_kernelIdcLj256ELj1ELj14EEvPKT_PKT0_PS0_.uses_flat_scratch, 0
	.set _Z30block_run_length_decode_kernelIdcLj256ELj1ELj14EEvPKT_PKT0_PS0_.has_dyn_sized_stack, 0
	.set _Z30block_run_length_decode_kernelIdcLj256ELj1ELj14EEvPKT_PKT0_PS0_.has_recursion, 0
	.set _Z30block_run_length_decode_kernelIdcLj256ELj1ELj14EEvPKT_PKT0_PS0_.has_indirect_call, 0
	.section	.AMDGPU.csdata,"",@progbits
; Kernel info:
; codeLenInByte = 3048
; TotalNumSgprs: 13
; NumVgprs: 47
; ScratchSize: 0
; MemoryBound: 0
; FloatMode: 240
; IeeeMode: 1
; LDSByteSize: 3072 bytes/workgroup (compile time only)
; SGPRBlocks: 1
; VGPRBlocks: 11
; NumSGPRsForWavesPerEU: 13
; NumVGPRsForWavesPerEU: 47
; Occupancy: 5
; WaveLimiterHint : 0
; COMPUTE_PGM_RSRC2:SCRATCH_EN: 0
; COMPUTE_PGM_RSRC2:USER_SGPR: 6
; COMPUTE_PGM_RSRC2:TRAP_HANDLER: 0
; COMPUTE_PGM_RSRC2:TGID_X_EN: 1
; COMPUTE_PGM_RSRC2:TGID_Y_EN: 0
; COMPUTE_PGM_RSRC2:TGID_Z_EN: 0
; COMPUTE_PGM_RSRC2:TIDIG_COMP_CNT: 0
	.section	.text._Z30block_run_length_decode_kernelIiiLj256ELj1ELj14EEvPKT_PKT0_PS0_,"axG",@progbits,_Z30block_run_length_decode_kernelIiiLj256ELj1ELj14EEvPKT_PKT0_PS0_,comdat
	.protected	_Z30block_run_length_decode_kernelIiiLj256ELj1ELj14EEvPKT_PKT0_PS0_ ; -- Begin function _Z30block_run_length_decode_kernelIiiLj256ELj1ELj14EEvPKT_PKT0_PS0_
	.globl	_Z30block_run_length_decode_kernelIiiLj256ELj1ELj14EEvPKT_PKT0_PS0_
	.p2align	8
	.type	_Z30block_run_length_decode_kernelIiiLj256ELj1ELj14EEvPKT_PKT0_PS0_,@function
_Z30block_run_length_decode_kernelIiiLj256ELj1ELj14EEvPKT_PKT0_PS0_: ; @_Z30block_run_length_decode_kernelIiiLj256ELj1ELj14EEvPKT_PKT0_PS0_
; %bb.0:
	s_load_dwordx4 s[0:3], s[4:5], 0x0
	v_lshl_or_b32 v1, s6, 8, v0
	v_mov_b32_e32 v2, 0
	v_lshlrev_b64 v[2:3], 2, v[1:2]
	v_or_b32_e32 v6, 63, v0
	s_waitcnt lgkmcnt(0)
	v_mov_b32_e32 v5, s3
	v_add_co_u32_e32 v4, vcc, s2, v2
	v_addc_co_u32_e32 v5, vcc, v5, v3, vcc
	global_load_dword v5, v[4:5], off
	v_mov_b32_e32 v4, s1
	v_add_co_u32_e32 v2, vcc, s0, v2
	v_addc_co_u32_e32 v3, vcc, v4, v3, vcc
	global_load_dword v2, v[2:3], off
	v_mbcnt_lo_u32_b32 v3, -1, 0
	v_mbcnt_hi_u32_b32 v3, -1, v3
	v_and_b32_e32 v7, 15, v3
	v_cmp_ne_u32_e32 vcc, 0, v7
	v_bfe_i32 v8, v3, 4, 1
	v_lshrrev_b32_e32 v4, 6, v0
	s_waitcnt vmcnt(1)
	v_mov_b32_dpp v9, v5 row_shr:1 row_mask:0xf bank_mask:0xf
	v_cndmask_b32_e32 v9, 0, v9, vcc
	v_add_u32_e32 v5, v9, v5
	v_cmp_lt_u32_e32 vcc, 1, v7
	s_nop 0
	v_mov_b32_dpp v9, v5 row_shr:2 row_mask:0xf bank_mask:0xf
	v_cndmask_b32_e32 v9, 0, v9, vcc
	v_add_u32_e32 v5, v5, v9
	v_cmp_lt_u32_e32 vcc, 3, v7
	s_nop 0
	;; [unrolled: 5-line block ×4, first 2 shown]
	v_mov_b32_dpp v7, v5 row_bcast:15 row_mask:0xf bank_mask:0xf
	v_and_b32_e32 v7, v8, v7
	v_add_u32_e32 v5, v5, v7
	s_nop 1
	v_mov_b32_dpp v7, v5 row_bcast:31 row_mask:0xf bank_mask:0xf
	v_cndmask_b32_e32 v7, 0, v7, vcc
	v_add_u32_e32 v5, v5, v7
	v_cmp_eq_u32_e32 vcc, v0, v6
	s_and_saveexec_b64 s[0:1], vcc
; %bb.1:
	v_lshlrev_b32_e32 v6, 2, v4
	ds_write_b32 v6, v5
; %bb.2:
	s_or_b64 exec, exec, s[0:1]
	v_cmp_gt_u32_e32 vcc, 4, v0
	v_lshlrev_b32_e32 v6, 2, v0
	s_waitcnt vmcnt(0) lgkmcnt(0)
	s_barrier
	s_and_saveexec_b64 s[0:1], vcc
	s_cbranch_execz .LBB11_4
; %bb.3:
	ds_read_b32 v7, v6
	v_and_b32_e32 v8, 3, v3
	v_cmp_ne_u32_e32 vcc, 0, v8
	s_waitcnt lgkmcnt(0)
	v_mov_b32_dpp v9, v7 row_shr:1 row_mask:0xf bank_mask:0xf
	v_cndmask_b32_e32 v9, 0, v9, vcc
	v_add_u32_e32 v7, v9, v7
	v_cmp_lt_u32_e32 vcc, 1, v8
	s_nop 0
	v_mov_b32_dpp v9, v7 row_shr:2 row_mask:0xf bank_mask:0xf
	v_cndmask_b32_e32 v8, 0, v9, vcc
	v_add_u32_e32 v7, v7, v8
	ds_write_b32 v6, v7
.LBB11_4:
	s_or_b64 exec, exec, s[0:1]
	v_cmp_lt_u32_e32 vcc, 63, v0
	v_mov_b32_e32 v7, 0
	v_mov_b32_e32 v8, 0
	s_waitcnt lgkmcnt(0)
	s_barrier
	s_and_saveexec_b64 s[0:1], vcc
; %bb.5:
	v_lshl_add_u32 v4, v4, 2, -4
	ds_read_b32 v8, v4
; %bb.6:
	s_or_b64 exec, exec, s[0:1]
	s_waitcnt lgkmcnt(0)
	v_add_u32_e32 v4, v8, v5
	v_subrev_co_u32_e32 v5, vcc, 1, v3
	v_and_b32_e32 v9, 64, v3
	v_cmp_lt_i32_e64 s[0:1], v5, v9
	v_cndmask_b32_e64 v3, v5, v3, s[0:1]
	v_lshlrev_b32_e32 v3, 2, v3
	ds_bpermute_b32 v3, v3, v4
	ds_read_b32 v4, v7 offset:12
	s_mov_b32 s1, 0
	s_waitcnt lgkmcnt(0)
	s_barrier
	v_cndmask_b32_e32 v3, v3, v8, vcc
	v_cmp_eq_u32_e32 vcc, 0, v4
	v_readfirstlane_b32 s6, v4
	ds_write2st64_b32 v6, v2, v3 offset1:4
	s_waitcnt lgkmcnt(0)
	s_barrier
	s_cbranch_vccnz .LBB11_115
; %bb.7:
	v_mul_lo_u32 v1, v1, 14
	s_load_dwordx2 s[2:3], s[4:5], 0x10
	v_mov_b32_e32 v2, 0
	ds_read_b32 v16, v2 offset:1536
	v_lshlrev_b64 v[4:5], 2, v[1:2]
	v_mul_u32_u24_e32 v0, 14, v0
	s_waitcnt lgkmcnt(0)
	v_mov_b32_e32 v3, s3
	v_add_co_u32_e32 v4, vcc, s2, v4
	v_addc_co_u32_e32 v5, vcc, v3, v5, vcc
	v_add_u32_e32 v6, 4, v1
	v_add_u32_e32 v7, 5, v1
	;; [unrolled: 1-line block ×10, first 2 shown]
	v_mov_b32_e32 v17, 0x81
	s_movk_i32 s7, 0xff
	s_mov_b32 s8, s6
	s_mov_b32 s0, s1
	v_mov_b32_e32 v18, 0x100
	v_mov_b32_e32 v19, 0x80
	;; [unrolled: 1-line block ×3, first 2 shown]
	s_branch .LBB11_9
.LBB11_8:                               ;   in Loop: Header=BB11_9 Depth=1
	s_or_b64 exec, exec, s[2:3]
	s_addk_i32 s0, 0xe00
	s_addk_i32 s8, 0xf200
	s_cmp_lt_u32 s0, s6
	s_cbranch_scc0 .LBB11_115
.LBB11_9:                               ; =>This Inner Loop Header: Depth=1
	v_add_u32_e32 v2, s0, v0
	v_cmp_lt_u32_e32 vcc, v2, v16
	v_cndmask_b32_e64 v21, v20, 64, vcc
	v_lshlrev_b32_e32 v22, 2, v21
	ds_read_b32 v22, v22 offset:1024
	v_cndmask_b32_e64 v3, v17, 0, vcc
	v_cndmask_b32_e32 v23, v18, v19, vcc
	v_or_b32_e32 v24, 1, v21
	s_waitcnt lgkmcnt(0)
	v_cmp_lt_u32_e32 vcc, v2, v22
	v_cndmask_b32_e32 v3, v24, v3, vcc
	v_cndmask_b32_e32 v21, v23, v21, vcc
	v_sub_u32_e32 v22, v21, v3
	v_lshrrev_b16_e32 v23, 15, v22
	v_add_u16_e32 v22, v22, v23
	v_ashrrev_i16_e32 v22, 1, v22
	v_add_u32_sdwa v22, v3, sext(v22) dst_sel:DWORD dst_unused:UNUSED_PAD src0_sel:DWORD src1_sel:WORD_0
	v_min_i32_e32 v22, 0xff, v22
	v_lshlrev_b32_e32 v23, 2, v22
	ds_read_b32 v23, v23 offset:1024
	v_add_u32_e32 v24, 1, v22
	s_waitcnt lgkmcnt(0)
	v_cmp_lt_u32_e32 vcc, v2, v23
	v_cndmask_b32_e32 v3, v24, v3, vcc
	v_cndmask_b32_e32 v21, v21, v22, vcc
	v_sub_u32_e32 v22, v21, v3
	v_lshrrev_b16_e32 v23, 15, v22
	v_add_u16_e32 v22, v22, v23
	v_ashrrev_i16_e32 v22, 1, v22
	v_add_u32_sdwa v22, v3, sext(v22) dst_sel:DWORD dst_unused:UNUSED_PAD src0_sel:DWORD src1_sel:WORD_0
	v_min_i32_e32 v22, 0xff, v22
	v_lshlrev_b32_e32 v23, 2, v22
	ds_read_b32 v23, v23 offset:1024
	v_add_u32_e32 v24, 1, v22
	;; [unrolled: 13-line block ×7, first 2 shown]
	s_waitcnt lgkmcnt(0)
	v_cmp_lt_u32_e32 vcc, v2, v22
	v_cndmask_b32_e32 v23, v21, v3, vcc
	v_add_u32_e32 v3, -1, v23
	v_cmp_ne_u32_e32 vcc, s7, v3
                                        ; implicit-def: $vgpr22
	s_and_saveexec_b64 s[2:3], vcc
	s_xor_b64 s[2:3], exec, s[2:3]
; %bb.10:                               ;   in Loop: Header=BB11_9 Depth=1
	v_lshlrev_b32_e32 v21, 2, v23
	ds_read_b32 v22, v21 offset:1024
; %bb.11:                               ;   in Loop: Header=BB11_9 Depth=1
	s_andn2_saveexec_b64 s[2:3], s[2:3]
	s_cbranch_execz .LBB11_13
; %bb.12:                               ;   in Loop: Header=BB11_9 Depth=1
	s_waitcnt lgkmcnt(0)
	v_add_u32_e32 v22, 14, v2
.LBB11_13:                              ;   in Loop: Header=BB11_9 Depth=1
	s_or_b64 exec, exec, s[2:3]
	v_lshlrev_b32_e32 v21, 2, v3
	ds_read_b32 v21, v21
	s_waitcnt lgkmcnt(1)
	v_add_u32_e32 v31, -1, v22
	v_cmp_eq_u32_e32 vcc, v2, v31
	s_waitcnt lgkmcnt(0)
	v_mov_b32_e32 v22, v21
	s_and_saveexec_b64 s[2:3], vcc
	s_cbranch_execz .LBB11_19
; %bb.14:                               ;   in Loop: Header=BB11_9 Depth=1
	v_cmp_ne_u32_e32 vcc, s7, v23
	v_lshlrev_b32_e32 v3, 2, v23
                                        ; implicit-def: $vgpr24
	s_and_saveexec_b64 s[4:5], vcc
	s_xor_b64 s[4:5], exec, s[4:5]
; %bb.15:                               ;   in Loop: Header=BB11_9 Depth=1
	ds_read_b32 v24, v3 offset:1028
; %bb.16:                               ;   in Loop: Header=BB11_9 Depth=1
	s_andn2_saveexec_b64 s[4:5], s[4:5]
	s_cbranch_execz .LBB11_18
; %bb.17:                               ;   in Loop: Header=BB11_9 Depth=1
	s_waitcnt lgkmcnt(0)
	v_add_u32_e32 v24, 14, v2
.LBB11_18:                              ;   in Loop: Header=BB11_9 Depth=1
	s_or_b64 exec, exec, s[4:5]
	ds_read_b32 v22, v3
	s_waitcnt lgkmcnt(1)
	v_add_u32_e32 v31, -1, v24
	v_mov_b32_e32 v3, v23
.LBB11_19:                              ;   in Loop: Header=BB11_9 Depth=1
	s_or_b64 exec, exec, s[2:3]
	v_add_u32_e32 v23, 1, v2
	v_cmp_eq_u32_e32 vcc, v23, v31
	s_waitcnt lgkmcnt(0)
	v_mov_b32_e32 v23, v22
	s_and_saveexec_b64 s[2:3], vcc
	s_cbranch_execz .LBB11_25
; %bb.20:                               ;   in Loop: Header=BB11_9 Depth=1
	v_add_u32_e32 v24, 1, v3
	v_cmp_ne_u32_e32 vcc, s7, v24
	v_lshlrev_b32_e32 v3, 2, v3
                                        ; implicit-def: $vgpr25
	s_and_saveexec_b64 s[4:5], vcc
	s_xor_b64 s[4:5], exec, s[4:5]
; %bb.21:                               ;   in Loop: Header=BB11_9 Depth=1
	ds_read_b32 v25, v3 offset:1032
; %bb.22:                               ;   in Loop: Header=BB11_9 Depth=1
	s_andn2_saveexec_b64 s[4:5], s[4:5]
	s_cbranch_execz .LBB11_24
; %bb.23:                               ;   in Loop: Header=BB11_9 Depth=1
	s_waitcnt lgkmcnt(0)
	v_add_u32_e32 v25, 15, v2
.LBB11_24:                              ;   in Loop: Header=BB11_9 Depth=1
	s_or_b64 exec, exec, s[4:5]
	ds_read_b32 v23, v3 offset:4
	s_waitcnt lgkmcnt(1)
	v_add_u32_e32 v31, -1, v25
	v_mov_b32_e32 v3, v24
.LBB11_25:                              ;   in Loop: Header=BB11_9 Depth=1
	s_or_b64 exec, exec, s[2:3]
	v_add_u32_e32 v24, 2, v2
	v_cmp_eq_u32_e32 vcc, v24, v31
	s_waitcnt lgkmcnt(0)
	v_mov_b32_e32 v24, v23
	s_and_saveexec_b64 s[2:3], vcc
	s_cbranch_execz .LBB11_31
; %bb.26:                               ;   in Loop: Header=BB11_9 Depth=1
	v_add_u32_e32 v25, 1, v3
	v_cmp_ne_u32_e32 vcc, s7, v25
	v_lshlrev_b32_e32 v3, 2, v3
                                        ; implicit-def: $vgpr26
	s_and_saveexec_b64 s[4:5], vcc
	s_xor_b64 s[4:5], exec, s[4:5]
; %bb.27:                               ;   in Loop: Header=BB11_9 Depth=1
	ds_read_b32 v26, v3 offset:1032
; %bb.28:                               ;   in Loop: Header=BB11_9 Depth=1
	s_andn2_saveexec_b64 s[4:5], s[4:5]
	s_cbranch_execz .LBB11_30
; %bb.29:                               ;   in Loop: Header=BB11_9 Depth=1
	s_waitcnt lgkmcnt(0)
	v_add_u32_e32 v26, 16, v2
.LBB11_30:                              ;   in Loop: Header=BB11_9 Depth=1
	s_or_b64 exec, exec, s[4:5]
	ds_read_b32 v24, v3 offset:4
	s_waitcnt lgkmcnt(1)
	v_add_u32_e32 v31, -1, v26
	v_mov_b32_e32 v3, v25
.LBB11_31:                              ;   in Loop: Header=BB11_9 Depth=1
	s_or_b64 exec, exec, s[2:3]
	v_add_u32_e32 v25, 3, v2
	v_cmp_eq_u32_e32 vcc, v25, v31
	s_waitcnt lgkmcnt(0)
	v_mov_b32_e32 v25, v24
	s_and_saveexec_b64 s[2:3], vcc
	s_cbranch_execz .LBB11_37
; %bb.32:                               ;   in Loop: Header=BB11_9 Depth=1
	v_add_u32_e32 v26, 1, v3
	v_cmp_ne_u32_e32 vcc, s7, v26
	v_lshlrev_b32_e32 v3, 2, v3
                                        ; implicit-def: $vgpr27
	s_and_saveexec_b64 s[4:5], vcc
	s_xor_b64 s[4:5], exec, s[4:5]
; %bb.33:                               ;   in Loop: Header=BB11_9 Depth=1
	ds_read_b32 v27, v3 offset:1032
; %bb.34:                               ;   in Loop: Header=BB11_9 Depth=1
	s_andn2_saveexec_b64 s[4:5], s[4:5]
	s_cbranch_execz .LBB11_36
; %bb.35:                               ;   in Loop: Header=BB11_9 Depth=1
	s_waitcnt lgkmcnt(0)
	v_add_u32_e32 v27, 17, v2
.LBB11_36:                              ;   in Loop: Header=BB11_9 Depth=1
	s_or_b64 exec, exec, s[4:5]
	ds_read_b32 v25, v3 offset:4
	s_waitcnt lgkmcnt(1)
	v_add_u32_e32 v31, -1, v27
	v_mov_b32_e32 v3, v26
.LBB11_37:                              ;   in Loop: Header=BB11_9 Depth=1
	s_or_b64 exec, exec, s[2:3]
	v_add_u32_e32 v26, 4, v2
	v_cmp_eq_u32_e32 vcc, v26, v31
	s_waitcnt lgkmcnt(0)
	v_mov_b32_e32 v26, v25
	s_and_saveexec_b64 s[2:3], vcc
	s_cbranch_execz .LBB11_43
; %bb.38:                               ;   in Loop: Header=BB11_9 Depth=1
	v_add_u32_e32 v27, 1, v3
	v_cmp_ne_u32_e32 vcc, s7, v27
	v_lshlrev_b32_e32 v3, 2, v3
                                        ; implicit-def: $vgpr28
	s_and_saveexec_b64 s[4:5], vcc
	s_xor_b64 s[4:5], exec, s[4:5]
; %bb.39:                               ;   in Loop: Header=BB11_9 Depth=1
	ds_read_b32 v28, v3 offset:1032
; %bb.40:                               ;   in Loop: Header=BB11_9 Depth=1
	s_andn2_saveexec_b64 s[4:5], s[4:5]
	s_cbranch_execz .LBB11_42
; %bb.41:                               ;   in Loop: Header=BB11_9 Depth=1
	s_waitcnt lgkmcnt(0)
	v_add_u32_e32 v28, 18, v2
.LBB11_42:                              ;   in Loop: Header=BB11_9 Depth=1
	s_or_b64 exec, exec, s[4:5]
	ds_read_b32 v26, v3 offset:4
	s_waitcnt lgkmcnt(1)
	v_add_u32_e32 v31, -1, v28
	v_mov_b32_e32 v3, v27
.LBB11_43:                              ;   in Loop: Header=BB11_9 Depth=1
	s_or_b64 exec, exec, s[2:3]
	v_add_u32_e32 v27, 5, v2
	v_cmp_eq_u32_e32 vcc, v27, v31
	s_waitcnt lgkmcnt(0)
	v_mov_b32_e32 v27, v26
	s_and_saveexec_b64 s[2:3], vcc
	s_cbranch_execz .LBB11_49
; %bb.44:                               ;   in Loop: Header=BB11_9 Depth=1
	v_add_u32_e32 v28, 1, v3
	v_cmp_ne_u32_e32 vcc, s7, v28
	v_lshlrev_b32_e32 v3, 2, v3
                                        ; implicit-def: $vgpr29
	s_and_saveexec_b64 s[4:5], vcc
	s_xor_b64 s[4:5], exec, s[4:5]
; %bb.45:                               ;   in Loop: Header=BB11_9 Depth=1
	ds_read_b32 v29, v3 offset:1032
; %bb.46:                               ;   in Loop: Header=BB11_9 Depth=1
	s_andn2_saveexec_b64 s[4:5], s[4:5]
	s_cbranch_execz .LBB11_48
; %bb.47:                               ;   in Loop: Header=BB11_9 Depth=1
	s_waitcnt lgkmcnt(0)
	v_add_u32_e32 v29, 19, v2
.LBB11_48:                              ;   in Loop: Header=BB11_9 Depth=1
	s_or_b64 exec, exec, s[4:5]
	ds_read_b32 v27, v3 offset:4
	s_waitcnt lgkmcnt(1)
	v_add_u32_e32 v31, -1, v29
	v_mov_b32_e32 v3, v28
.LBB11_49:                              ;   in Loop: Header=BB11_9 Depth=1
	s_or_b64 exec, exec, s[2:3]
	v_add_u32_e32 v28, 6, v2
	v_cmp_eq_u32_e32 vcc, v28, v31
	s_waitcnt lgkmcnt(0)
	v_mov_b32_e32 v28, v27
	s_and_saveexec_b64 s[2:3], vcc
	s_cbranch_execz .LBB11_55
; %bb.50:                               ;   in Loop: Header=BB11_9 Depth=1
	v_add_u32_e32 v29, 1, v3
	v_cmp_ne_u32_e32 vcc, s7, v29
	v_lshlrev_b32_e32 v3, 2, v3
                                        ; implicit-def: $vgpr30
	s_and_saveexec_b64 s[4:5], vcc
	s_xor_b64 s[4:5], exec, s[4:5]
; %bb.51:                               ;   in Loop: Header=BB11_9 Depth=1
	ds_read_b32 v30, v3 offset:1032
; %bb.52:                               ;   in Loop: Header=BB11_9 Depth=1
	s_andn2_saveexec_b64 s[4:5], s[4:5]
	s_cbranch_execz .LBB11_54
; %bb.53:                               ;   in Loop: Header=BB11_9 Depth=1
	s_waitcnt lgkmcnt(0)
	v_add_u32_e32 v30, 20, v2
.LBB11_54:                              ;   in Loop: Header=BB11_9 Depth=1
	s_or_b64 exec, exec, s[4:5]
	ds_read_b32 v28, v3 offset:4
	s_waitcnt lgkmcnt(1)
	v_add_u32_e32 v31, -1, v30
	v_mov_b32_e32 v3, v29
.LBB11_55:                              ;   in Loop: Header=BB11_9 Depth=1
	s_or_b64 exec, exec, s[2:3]
	v_add_u32_e32 v29, 7, v2
	v_cmp_eq_u32_e32 vcc, v29, v31
	s_waitcnt lgkmcnt(0)
	v_mov_b32_e32 v29, v28
	s_and_saveexec_b64 s[2:3], vcc
	s_cbranch_execz .LBB11_61
; %bb.56:                               ;   in Loop: Header=BB11_9 Depth=1
	v_add_u32_e32 v30, 1, v3
	v_cmp_ne_u32_e32 vcc, s7, v30
	v_lshlrev_b32_e32 v3, 2, v3
                                        ; implicit-def: $vgpr31
	s_and_saveexec_b64 s[4:5], vcc
	s_xor_b64 s[4:5], exec, s[4:5]
; %bb.57:                               ;   in Loop: Header=BB11_9 Depth=1
	ds_read_b32 v31, v3 offset:1032
; %bb.58:                               ;   in Loop: Header=BB11_9 Depth=1
	s_andn2_saveexec_b64 s[4:5], s[4:5]
	s_cbranch_execz .LBB11_60
; %bb.59:                               ;   in Loop: Header=BB11_9 Depth=1
	s_waitcnt lgkmcnt(0)
	v_add_u32_e32 v31, 21, v2
.LBB11_60:                              ;   in Loop: Header=BB11_9 Depth=1
	s_or_b64 exec, exec, s[4:5]
	ds_read_b32 v29, v3 offset:4
	s_waitcnt lgkmcnt(1)
	v_add_u32_e32 v31, -1, v31
	v_mov_b32_e32 v3, v30
.LBB11_61:                              ;   in Loop: Header=BB11_9 Depth=1
	s_or_b64 exec, exec, s[2:3]
	v_add_u32_e32 v30, 8, v2
	v_cmp_eq_u32_e32 vcc, v30, v31
	s_waitcnt lgkmcnt(0)
	v_mov_b32_e32 v30, v29
	s_and_saveexec_b64 s[2:3], vcc
	s_cbranch_execz .LBB11_67
; %bb.62:                               ;   in Loop: Header=BB11_9 Depth=1
	v_add_u32_e32 v32, 1, v3
	v_cmp_ne_u32_e32 vcc, s7, v32
	v_lshlrev_b32_e32 v3, 2, v3
                                        ; implicit-def: $vgpr31
	s_and_saveexec_b64 s[4:5], vcc
	s_xor_b64 s[4:5], exec, s[4:5]
; %bb.63:                               ;   in Loop: Header=BB11_9 Depth=1
	ds_read_b32 v31, v3 offset:1032
; %bb.64:                               ;   in Loop: Header=BB11_9 Depth=1
	s_andn2_saveexec_b64 s[4:5], s[4:5]
	s_cbranch_execz .LBB11_66
; %bb.65:                               ;   in Loop: Header=BB11_9 Depth=1
	s_waitcnt lgkmcnt(0)
	v_add_u32_e32 v31, 22, v2
.LBB11_66:                              ;   in Loop: Header=BB11_9 Depth=1
	s_or_b64 exec, exec, s[4:5]
	ds_read_b32 v30, v3 offset:4
	s_waitcnt lgkmcnt(1)
	v_add_u32_e32 v31, -1, v31
	v_mov_b32_e32 v3, v32
.LBB11_67:                              ;   in Loop: Header=BB11_9 Depth=1
	;; [unrolled: 29-line block ×5, first 2 shown]
	s_or_b64 exec, exec, s[2:3]
	v_add_u32_e32 v2, 12, v2
	v_cmp_eq_u32_e32 vcc, v2, v31
	s_waitcnt lgkmcnt(0)
	v_mov_b32_e32 v31, v34
	s_and_saveexec_b64 s[2:3], vcc
; %bb.86:                               ;   in Loop: Header=BB11_9 Depth=1
	v_lshlrev_b32_e32 v2, 2, v3
	ds_read_b32 v31, v2 offset:4
; %bb.87:                               ;   in Loop: Header=BB11_9 Depth=1
	s_or_b64 exec, exec, s[2:3]
	s_lshl_b64 s[2:3], s[0:1], 2
	v_mov_b32_e32 v3, s3
	v_add_co_u32_e32 v2, vcc, s2, v4
	s_min_u32 s4, s8, 0xe00
	v_addc_co_u32_e32 v3, vcc, v5, v3, vcc
	v_cmp_gt_u32_e32 vcc, s4, v1
	s_and_saveexec_b64 s[2:3], vcc
	s_cbranch_execz .LBB11_89
; %bb.88:                               ;   in Loop: Header=BB11_9 Depth=1
	global_store_dword v[2:3], v21, off
.LBB11_89:                              ;   in Loop: Header=BB11_9 Depth=1
	s_or_b64 exec, exec, s[2:3]
	v_or_b32_e32 v21, 1, v1
	v_cmp_gt_u32_e32 vcc, s4, v21
	s_and_saveexec_b64 s[2:3], vcc
	s_cbranch_execz .LBB11_91
; %bb.90:                               ;   in Loop: Header=BB11_9 Depth=1
	global_store_dword v[2:3], v22, off offset:4
.LBB11_91:                              ;   in Loop: Header=BB11_9 Depth=1
	s_or_b64 exec, exec, s[2:3]
	v_add_u32_e32 v21, 2, v1
	v_cmp_gt_u32_e32 vcc, s4, v21
	s_and_saveexec_b64 s[2:3], vcc
	s_cbranch_execz .LBB11_93
; %bb.92:                               ;   in Loop: Header=BB11_9 Depth=1
	global_store_dword v[2:3], v23, off offset:8
.LBB11_93:                              ;   in Loop: Header=BB11_9 Depth=1
	s_or_b64 exec, exec, s[2:3]
	v_add_u32_e32 v21, 3, v1
	v_cmp_gt_u32_e32 vcc, s4, v21
	s_and_saveexec_b64 s[2:3], vcc
	s_cbranch_execnz .LBB11_104
; %bb.94:                               ;   in Loop: Header=BB11_9 Depth=1
	s_or_b64 exec, exec, s[2:3]
	v_cmp_gt_u32_e32 vcc, s4, v6
	s_and_saveexec_b64 s[2:3], vcc
	s_cbranch_execnz .LBB11_105
.LBB11_95:                              ;   in Loop: Header=BB11_9 Depth=1
	s_or_b64 exec, exec, s[2:3]
	v_cmp_gt_u32_e32 vcc, s4, v7
	s_and_saveexec_b64 s[2:3], vcc
	s_cbranch_execnz .LBB11_106
.LBB11_96:                              ;   in Loop: Header=BB11_9 Depth=1
	s_or_b64 exec, exec, s[2:3]
	v_cmp_gt_u32_e32 vcc, s4, v8
	s_and_saveexec_b64 s[2:3], vcc
	s_cbranch_execnz .LBB11_107
.LBB11_97:                              ;   in Loop: Header=BB11_9 Depth=1
	s_or_b64 exec, exec, s[2:3]
	v_cmp_gt_u32_e32 vcc, s4, v9
	s_and_saveexec_b64 s[2:3], vcc
	s_cbranch_execnz .LBB11_108
.LBB11_98:                              ;   in Loop: Header=BB11_9 Depth=1
	s_or_b64 exec, exec, s[2:3]
	v_cmp_gt_u32_e32 vcc, s4, v10
	s_and_saveexec_b64 s[2:3], vcc
	s_cbranch_execnz .LBB11_109
.LBB11_99:                              ;   in Loop: Header=BB11_9 Depth=1
	s_or_b64 exec, exec, s[2:3]
	v_cmp_gt_u32_e32 vcc, s4, v11
	s_and_saveexec_b64 s[2:3], vcc
	s_cbranch_execnz .LBB11_110
.LBB11_100:                             ;   in Loop: Header=BB11_9 Depth=1
	s_or_b64 exec, exec, s[2:3]
	v_cmp_gt_u32_e32 vcc, s4, v12
	s_and_saveexec_b64 s[2:3], vcc
	s_cbranch_execnz .LBB11_111
.LBB11_101:                             ;   in Loop: Header=BB11_9 Depth=1
	s_or_b64 exec, exec, s[2:3]
	v_cmp_gt_u32_e32 vcc, s4, v13
	s_and_saveexec_b64 s[2:3], vcc
	s_cbranch_execnz .LBB11_112
.LBB11_102:                             ;   in Loop: Header=BB11_9 Depth=1
	s_or_b64 exec, exec, s[2:3]
	v_cmp_gt_u32_e32 vcc, s4, v14
	s_and_saveexec_b64 s[2:3], vcc
	s_cbranch_execnz .LBB11_113
.LBB11_103:                             ;   in Loop: Header=BB11_9 Depth=1
	s_or_b64 exec, exec, s[2:3]
	v_cmp_gt_u32_e32 vcc, s4, v15
	s_and_saveexec_b64 s[2:3], vcc
	s_cbranch_execz .LBB11_8
	s_branch .LBB11_114
.LBB11_104:                             ;   in Loop: Header=BB11_9 Depth=1
	global_store_dword v[2:3], v24, off offset:12
	s_or_b64 exec, exec, s[2:3]
	v_cmp_gt_u32_e32 vcc, s4, v6
	s_and_saveexec_b64 s[2:3], vcc
	s_cbranch_execz .LBB11_95
.LBB11_105:                             ;   in Loop: Header=BB11_9 Depth=1
	global_store_dword v[2:3], v25, off offset:16
	s_or_b64 exec, exec, s[2:3]
	v_cmp_gt_u32_e32 vcc, s4, v7
	s_and_saveexec_b64 s[2:3], vcc
	s_cbranch_execz .LBB11_96
.LBB11_106:                             ;   in Loop: Header=BB11_9 Depth=1
	global_store_dword v[2:3], v26, off offset:20
	s_or_b64 exec, exec, s[2:3]
	v_cmp_gt_u32_e32 vcc, s4, v8
	s_and_saveexec_b64 s[2:3], vcc
	s_cbranch_execz .LBB11_97
.LBB11_107:                             ;   in Loop: Header=BB11_9 Depth=1
	global_store_dword v[2:3], v27, off offset:24
	s_or_b64 exec, exec, s[2:3]
	v_cmp_gt_u32_e32 vcc, s4, v9
	s_and_saveexec_b64 s[2:3], vcc
	s_cbranch_execz .LBB11_98
.LBB11_108:                             ;   in Loop: Header=BB11_9 Depth=1
	global_store_dword v[2:3], v28, off offset:28
	s_or_b64 exec, exec, s[2:3]
	v_cmp_gt_u32_e32 vcc, s4, v10
	s_and_saveexec_b64 s[2:3], vcc
	s_cbranch_execz .LBB11_99
.LBB11_109:                             ;   in Loop: Header=BB11_9 Depth=1
	global_store_dword v[2:3], v29, off offset:32
	s_or_b64 exec, exec, s[2:3]
	v_cmp_gt_u32_e32 vcc, s4, v11
	s_and_saveexec_b64 s[2:3], vcc
	s_cbranch_execz .LBB11_100
.LBB11_110:                             ;   in Loop: Header=BB11_9 Depth=1
	global_store_dword v[2:3], v30, off offset:36
	s_or_b64 exec, exec, s[2:3]
	v_cmp_gt_u32_e32 vcc, s4, v12
	s_and_saveexec_b64 s[2:3], vcc
	s_cbranch_execz .LBB11_101
.LBB11_111:                             ;   in Loop: Header=BB11_9 Depth=1
	global_store_dword v[2:3], v32, off offset:40
	s_or_b64 exec, exec, s[2:3]
	v_cmp_gt_u32_e32 vcc, s4, v13
	s_and_saveexec_b64 s[2:3], vcc
	s_cbranch_execz .LBB11_102
.LBB11_112:                             ;   in Loop: Header=BB11_9 Depth=1
	global_store_dword v[2:3], v33, off offset:44
	s_or_b64 exec, exec, s[2:3]
	v_cmp_gt_u32_e32 vcc, s4, v14
	s_and_saveexec_b64 s[2:3], vcc
	s_cbranch_execz .LBB11_103
.LBB11_113:                             ;   in Loop: Header=BB11_9 Depth=1
	global_store_dword v[2:3], v34, off offset:48
	s_or_b64 exec, exec, s[2:3]
	v_cmp_gt_u32_e32 vcc, s4, v15
	s_and_saveexec_b64 s[2:3], vcc
	s_cbranch_execz .LBB11_8
.LBB11_114:                             ;   in Loop: Header=BB11_9 Depth=1
	s_waitcnt lgkmcnt(0)
	global_store_dword v[2:3], v31, off offset:52
	s_branch .LBB11_8
.LBB11_115:
	s_endpgm
	.section	.rodata,"a",@progbits
	.p2align	6, 0x0
	.amdhsa_kernel _Z30block_run_length_decode_kernelIiiLj256ELj1ELj14EEvPKT_PKT0_PS0_
		.amdhsa_group_segment_fixed_size 2048
		.amdhsa_private_segment_fixed_size 0
		.amdhsa_kernarg_size 24
		.amdhsa_user_sgpr_count 6
		.amdhsa_user_sgpr_private_segment_buffer 1
		.amdhsa_user_sgpr_dispatch_ptr 0
		.amdhsa_user_sgpr_queue_ptr 0
		.amdhsa_user_sgpr_kernarg_segment_ptr 1
		.amdhsa_user_sgpr_dispatch_id 0
		.amdhsa_user_sgpr_flat_scratch_init 0
		.amdhsa_user_sgpr_private_segment_size 0
		.amdhsa_uses_dynamic_stack 0
		.amdhsa_system_sgpr_private_segment_wavefront_offset 0
		.amdhsa_system_sgpr_workgroup_id_x 1
		.amdhsa_system_sgpr_workgroup_id_y 0
		.amdhsa_system_sgpr_workgroup_id_z 0
		.amdhsa_system_sgpr_workgroup_info 0
		.amdhsa_system_vgpr_workitem_id 0
		.amdhsa_next_free_vgpr 36
		.amdhsa_next_free_sgpr 9
		.amdhsa_reserve_vcc 1
		.amdhsa_reserve_flat_scratch 0
		.amdhsa_float_round_mode_32 0
		.amdhsa_float_round_mode_16_64 0
		.amdhsa_float_denorm_mode_32 3
		.amdhsa_float_denorm_mode_16_64 3
		.amdhsa_dx10_clamp 1
		.amdhsa_ieee_mode 1
		.amdhsa_fp16_overflow 0
		.amdhsa_exception_fp_ieee_invalid_op 0
		.amdhsa_exception_fp_denorm_src 0
		.amdhsa_exception_fp_ieee_div_zero 0
		.amdhsa_exception_fp_ieee_overflow 0
		.amdhsa_exception_fp_ieee_underflow 0
		.amdhsa_exception_fp_ieee_inexact 0
		.amdhsa_exception_int_div_zero 0
	.end_amdhsa_kernel
	.section	.text._Z30block_run_length_decode_kernelIiiLj256ELj1ELj14EEvPKT_PKT0_PS0_,"axG",@progbits,_Z30block_run_length_decode_kernelIiiLj256ELj1ELj14EEvPKT_PKT0_PS0_,comdat
.Lfunc_end11:
	.size	_Z30block_run_length_decode_kernelIiiLj256ELj1ELj14EEvPKT_PKT0_PS0_, .Lfunc_end11-_Z30block_run_length_decode_kernelIiiLj256ELj1ELj14EEvPKT_PKT0_PS0_
                                        ; -- End function
	.set _Z30block_run_length_decode_kernelIiiLj256ELj1ELj14EEvPKT_PKT0_PS0_.num_vgpr, 36
	.set _Z30block_run_length_decode_kernelIiiLj256ELj1ELj14EEvPKT_PKT0_PS0_.num_agpr, 0
	.set _Z30block_run_length_decode_kernelIiiLj256ELj1ELj14EEvPKT_PKT0_PS0_.numbered_sgpr, 9
	.set _Z30block_run_length_decode_kernelIiiLj256ELj1ELj14EEvPKT_PKT0_PS0_.num_named_barrier, 0
	.set _Z30block_run_length_decode_kernelIiiLj256ELj1ELj14EEvPKT_PKT0_PS0_.private_seg_size, 0
	.set _Z30block_run_length_decode_kernelIiiLj256ELj1ELj14EEvPKT_PKT0_PS0_.uses_vcc, 1
	.set _Z30block_run_length_decode_kernelIiiLj256ELj1ELj14EEvPKT_PKT0_PS0_.uses_flat_scratch, 0
	.set _Z30block_run_length_decode_kernelIiiLj256ELj1ELj14EEvPKT_PKT0_PS0_.has_dyn_sized_stack, 0
	.set _Z30block_run_length_decode_kernelIiiLj256ELj1ELj14EEvPKT_PKT0_PS0_.has_recursion, 0
	.set _Z30block_run_length_decode_kernelIiiLj256ELj1ELj14EEvPKT_PKT0_PS0_.has_indirect_call, 0
	.section	.AMDGPU.csdata,"",@progbits
; Kernel info:
; codeLenInByte = 2968
; TotalNumSgprs: 13
; NumVgprs: 36
; ScratchSize: 0
; MemoryBound: 0
; FloatMode: 240
; IeeeMode: 1
; LDSByteSize: 2048 bytes/workgroup (compile time only)
; SGPRBlocks: 1
; VGPRBlocks: 8
; NumSGPRsForWavesPerEU: 13
; NumVGPRsForWavesPerEU: 36
; Occupancy: 7
; WaveLimiterHint : 0
; COMPUTE_PGM_RSRC2:SCRATCH_EN: 0
; COMPUTE_PGM_RSRC2:USER_SGPR: 6
; COMPUTE_PGM_RSRC2:TRAP_HANDLER: 0
; COMPUTE_PGM_RSRC2:TGID_X_EN: 1
; COMPUTE_PGM_RSRC2:TGID_Y_EN: 0
; COMPUTE_PGM_RSRC2:TGID_Z_EN: 0
; COMPUTE_PGM_RSRC2:TIDIG_COMP_CNT: 0
	.section	.text._Z30block_run_length_decode_kernelI12hip_bfloat16iLj256ELj8ELj8EEvPKT_PKT0_PS1_,"axG",@progbits,_Z30block_run_length_decode_kernelI12hip_bfloat16iLj256ELj8ELj8EEvPKT_PKT0_PS1_,comdat
	.protected	_Z30block_run_length_decode_kernelI12hip_bfloat16iLj256ELj8ELj8EEvPKT_PKT0_PS1_ ; -- Begin function _Z30block_run_length_decode_kernelI12hip_bfloat16iLj256ELj8ELj8EEvPKT_PKT0_PS1_
	.globl	_Z30block_run_length_decode_kernelI12hip_bfloat16iLj256ELj8ELj8EEvPKT_PKT0_PS1_
	.p2align	8
	.type	_Z30block_run_length_decode_kernelI12hip_bfloat16iLj256ELj8ELj8EEvPKT_PKT0_PS1_,@function
_Z30block_run_length_decode_kernelI12hip_bfloat16iLj256ELj8ELj8EEvPKT_PKT0_PS1_: ; @_Z30block_run_length_decode_kernelI12hip_bfloat16iLj256ELj8ELj8EEvPKT_PKT0_PS1_
; %bb.0:
	s_load_dwordx4 s[0:3], s[4:5], 0x0
	v_lshlrev_b32_e32 v16, 3, v0
	v_lshl_or_b32 v13, s6, 11, v16
	v_mov_b32_e32 v14, 0
	v_lshlrev_b64 v[1:2], 2, v[13:14]
	s_waitcnt lgkmcnt(0)
	v_mov_b32_e32 v3, s3
	v_add_co_u32_e32 v1, vcc, s2, v1
	v_addc_co_u32_e32 v2, vcc, v3, v2, vcc
	global_load_dwordx4 v[9:12], v[1:2], off
	global_load_dwordx4 v[5:8], v[1:2], off offset:16
	v_lshlrev_b64 v[14:15], 1, v[13:14]
	v_mov_b32_e32 v2, s1
	v_add_co_u32_e32 v1, vcc, s0, v14
	v_addc_co_u32_e32 v2, vcc, v2, v15, vcc
	global_load_dwordx4 v[1:4], v[1:2], off
	v_mbcnt_lo_u32_b32 v17, -1, 0
	v_mbcnt_hi_u32_b32 v17, -1, v17
	v_and_b32_e32 v20, 15, v17
	v_cmp_ne_u32_e32 vcc, 0, v20
	v_bfe_i32 v21, v17, 4, 1
	v_or_b32_e32 v19, 63, v0
	v_lshrrev_b32_e32 v18, 6, v0
	s_waitcnt vmcnt(2)
	v_add_u32_e32 v22, v10, v9
	v_add3_u32 v22, v22, v11, v12
	s_waitcnt vmcnt(1)
	v_add3_u32 v22, v22, v5, v6
	v_add3_u32 v8, v22, v7, v8
	s_nop 1
	v_mov_b32_dpp v22, v8 row_shr:1 row_mask:0xf bank_mask:0xf
	v_cndmask_b32_e32 v22, 0, v22, vcc
	v_add_u32_e32 v8, v22, v8
	v_cmp_lt_u32_e32 vcc, 1, v20
	s_nop 0
	v_mov_b32_dpp v22, v8 row_shr:2 row_mask:0xf bank_mask:0xf
	v_cndmask_b32_e32 v22, 0, v22, vcc
	v_add_u32_e32 v8, v8, v22
	v_cmp_lt_u32_e32 vcc, 3, v20
	;; [unrolled: 5-line block ×4, first 2 shown]
	s_nop 0
	v_mov_b32_dpp v20, v8 row_bcast:15 row_mask:0xf bank_mask:0xf
	v_and_b32_e32 v20, v21, v20
	v_add_u32_e32 v8, v8, v20
	s_nop 1
	v_mov_b32_dpp v20, v8 row_bcast:31 row_mask:0xf bank_mask:0xf
	v_cndmask_b32_e32 v20, 0, v20, vcc
	v_add_u32_e32 v8, v8, v20
	v_cmp_eq_u32_e32 vcc, v0, v19
	s_and_saveexec_b64 s[0:1], vcc
; %bb.1:
	v_lshlrev_b32_e32 v19, 2, v18
	ds_write_b32 v19, v8
; %bb.2:
	s_or_b64 exec, exec, s[0:1]
	v_cmp_gt_u32_e32 vcc, 4, v0
	s_waitcnt vmcnt(0) lgkmcnt(0)
	s_barrier
	s_and_saveexec_b64 s[0:1], vcc
	s_cbranch_execz .LBB12_4
; %bb.3:
	v_lshlrev_b32_e32 v19, 2, v0
	ds_read_b32 v20, v19
	v_and_b32_e32 v21, 3, v17
	v_cmp_ne_u32_e32 vcc, 0, v21
	s_waitcnt lgkmcnt(0)
	v_mov_b32_dpp v22, v20 row_shr:1 row_mask:0xf bank_mask:0xf
	v_cndmask_b32_e32 v22, 0, v22, vcc
	v_add_u32_e32 v20, v22, v20
	v_cmp_lt_u32_e32 vcc, 1, v21
	s_nop 0
	v_mov_b32_dpp v22, v20 row_shr:2 row_mask:0xf bank_mask:0xf
	v_cndmask_b32_e32 v21, 0, v22, vcc
	v_add_u32_e32 v20, v20, v21
	ds_write_b32 v19, v20
.LBB12_4:
	s_or_b64 exec, exec, s[0:1]
	v_cmp_lt_u32_e32 vcc, 63, v0
	v_mov_b32_e32 v19, 0
	v_mov_b32_e32 v20, 0
	s_waitcnt lgkmcnt(0)
	s_barrier
	s_and_saveexec_b64 s[0:1], vcc
; %bb.5:
	v_lshl_add_u32 v18, v18, 2, -4
	ds_read_b32 v20, v18
; %bb.6:
	s_or_b64 exec, exec, s[0:1]
	v_subrev_co_u32_e32 v18, vcc, 1, v17
	v_and_b32_e32 v21, 64, v17
	v_cmp_lt_i32_e64 s[0:1], v18, v21
	v_cndmask_b32_e64 v17, v18, v17, s[0:1]
	s_waitcnt lgkmcnt(0)
	v_add_u32_e32 v8, v20, v8
	v_lshlrev_b32_e32 v17, 2, v17
	ds_bpermute_b32 v8, v17, v8
	ds_read_b32 v19, v19 offset:12
	s_mov_b32 s6, 0
	s_waitcnt lgkmcnt(0)
	s_barrier
	v_cndmask_b32_e32 v8, v8, v20, vcc
	v_cmp_ne_u32_e32 vcc, 0, v0
	v_cndmask_b32_e32 v8, 0, v8, vcc
	v_add_u32_e32 v9, v8, v9
	v_add_u32_e32 v10, v9, v10
	;; [unrolled: 1-line block ×7, first 2 shown]
	v_lshlrev_b32_e32 v7, 1, v16
	v_lshl_add_u32 v0, v0, 4, v7
	v_cmp_eq_u32_e32 vcc, 0, v19
	v_readfirstlane_b32 s7, v19
	ds_write_b64 v0, v[8:9] offset:4096
	ds_write2_b32 v7, v1, v2 offset1:1
	v_add_u32_e32 v1, 0x1000, v0
	s_and_b64 vcc, exec, vcc
	ds_write2_b64 v1, v[10:11], v[17:18] offset0:1 offset1:2
	ds_write2_b32 v7, v3, v4 offset0:2 offset1:3
	ds_write_b64 v0, v[5:6] offset:4120
	s_waitcnt lgkmcnt(0)
	s_barrier
	s_cbranch_vccnz .LBB12_67
; %bb.7:
	s_load_dwordx2 s[0:1], s[4:5], 0x10
	v_mov_b32_e32 v0, 0
	ds_read_b32 v2, v0 offset:8192
	v_or_b32_e32 v3, 1, v13
	v_or_b32_e32 v4, 2, v13
	s_waitcnt lgkmcnt(0)
	v_mov_b32_e32 v0, s1
	v_add_co_u32_e32 v1, vcc, s0, v14
	v_addc_co_u32_e32 v10, vcc, v0, v15, vcc
	v_add_co_u32_e32 v0, vcc, 14, v1
	v_or_b32_e32 v5, 3, v13
	v_or_b32_e32 v6, 4, v13
	;; [unrolled: 1-line block ×5, first 2 shown]
	v_addc_co_u32_e32 v1, vcc, 0, v10, vcc
	v_mov_b32_e32 v10, 0x401
	v_mov_b32_e32 v11, 0x800
	;; [unrolled: 1-line block ×5, first 2 shown]
	s_movk_i32 s4, 0x7ff
	s_mov_b32 s5, s7
	s_branch .LBB12_9
.LBB12_8:                               ;   in Loop: Header=BB12_9 Depth=1
	s_or_b64 exec, exec, s[0:1]
	s_addk_i32 s6, 0x800
	s_addk_i32 s5, 0xf800
	v_add_co_u32_e32 v0, vcc, 0x1000, v0
	s_cmp_lt_u32 s6, s7
	v_addc_co_u32_e32 v1, vcc, 0, v1, vcc
	s_cbranch_scc0 .LBB12_67
.LBB12_9:                               ; =>This Inner Loop Header: Depth=1
	s_waitcnt lgkmcnt(0)
	v_add_u32_e32 v17, s6, v16
	v_cmp_lt_u32_e32 vcc, v17, v2
	v_cndmask_b32_e32 v19, v14, v15, vcc
	v_lshlrev_b32_e32 v20, 2, v19
	ds_read_b32 v20, v20 offset:4096
	v_cndmask_b32_e64 v18, v10, 0, vcc
	v_cndmask_b32_e32 v21, v11, v12, vcc
	v_or_b32_e32 v22, 1, v19
	s_waitcnt lgkmcnt(0)
	v_cmp_lt_u32_e32 vcc, v17, v20
	v_cndmask_b32_e32 v18, v22, v18, vcc
	v_cndmask_b32_e32 v19, v21, v19, vcc
	v_sub_u32_e32 v20, v19, v18
	v_lshrrev_b16_e32 v21, 15, v20
	v_add_u16_e32 v20, v20, v21
	v_ashrrev_i16_e32 v20, 1, v20
	v_add_u32_sdwa v20, v18, sext(v20) dst_sel:DWORD dst_unused:UNUSED_PAD src0_sel:DWORD src1_sel:WORD_0
	v_min_i32_e32 v20, 0x7ff, v20
	v_lshlrev_b32_e32 v21, 2, v20
	ds_read_b32 v21, v21 offset:4096
	v_add_u32_e32 v22, 1, v20
	s_waitcnt lgkmcnt(0)
	v_cmp_lt_u32_e32 vcc, v17, v21
	v_cndmask_b32_e32 v18, v22, v18, vcc
	v_cndmask_b32_e32 v19, v19, v20, vcc
	v_sub_u32_e32 v20, v19, v18
	v_lshrrev_b16_e32 v21, 15, v20
	v_add_u16_e32 v20, v20, v21
	v_ashrrev_i16_e32 v20, 1, v20
	v_add_u32_sdwa v20, v18, sext(v20) dst_sel:DWORD dst_unused:UNUSED_PAD src0_sel:DWORD src1_sel:WORD_0
	v_min_i32_e32 v20, 0x7ff, v20
	v_lshlrev_b32_e32 v21, 2, v20
	ds_read_b32 v21, v21 offset:4096
	v_add_u32_e32 v22, 1, v20
	;; [unrolled: 13-line block ×8, first 2 shown]
	s_waitcnt lgkmcnt(0)
	v_cmp_lt_u32_e32 vcc, v17, v21
	v_cndmask_b32_e32 v18, v22, v18, vcc
	v_cndmask_b32_e32 v19, v19, v20, vcc
	v_sub_u32_e32 v20, v19, v18
	v_lshrrev_b32_e32 v21, 31, v20
	v_add_u32_e32 v20, v20, v21
	v_ashrrev_i32_e32 v20, 1, v20
	v_add_u32_e32 v20, v20, v18
	v_min_i32_e32 v20, 0x7ff, v20
	v_lshlrev_b32_e32 v21, 2, v20
	ds_read_b32 v21, v21 offset:4096
	v_add_u32_e32 v22, 1, v20
	s_waitcnt lgkmcnt(0)
	v_cmp_lt_u32_e32 vcc, v17, v21
	v_cndmask_b32_e32 v18, v22, v18, vcc
	v_cndmask_b32_e32 v19, v19, v20, vcc
	v_sub_u32_e32 v19, v19, v18
	v_lshrrev_b32_e32 v20, 31, v19
	v_add_u32_e32 v19, v19, v20
	v_ashrrev_i32_e32 v19, 1, v19
	v_add_u32_e32 v19, v19, v18
	v_min_i32_e32 v19, 0x7ff, v19
	v_lshlrev_b32_e32 v20, 2, v19
	ds_read_b32 v20, v20 offset:4096
	v_add_u32_e32 v19, 1, v19
	s_waitcnt lgkmcnt(0)
	v_cmp_lt_u32_e32 vcc, v17, v20
	v_cndmask_b32_e32 v21, v19, v18, vcc
	v_add_u32_e32 v20, -1, v21
	v_cmp_ne_u32_e32 vcc, s4, v20
                                        ; implicit-def: $vgpr19
	s_and_saveexec_b64 s[0:1], vcc
	s_xor_b64 s[0:1], exec, s[0:1]
; %bb.10:                               ;   in Loop: Header=BB12_9 Depth=1
	v_lshlrev_b32_e32 v18, 2, v21
	ds_read_b32 v19, v18 offset:4096
; %bb.11:                               ;   in Loop: Header=BB12_9 Depth=1
	s_andn2_saveexec_b64 s[0:1], s[0:1]
	s_cbranch_execz .LBB12_13
; %bb.12:                               ;   in Loop: Header=BB12_9 Depth=1
	s_waitcnt lgkmcnt(0)
	v_add_u32_e32 v19, 8, v17
.LBB12_13:                              ;   in Loop: Header=BB12_9 Depth=1
	s_or_b64 exec, exec, s[0:1]
	v_lshlrev_b32_e32 v18, 1, v20
	ds_read_u16 v18, v18
	s_waitcnt lgkmcnt(1)
	v_add_u32_e32 v25, -1, v19
	v_cmp_eq_u32_e32 vcc, v17, v25
	s_waitcnt lgkmcnt(0)
	v_mov_b32_e32 v19, v18
	s_and_saveexec_b64 s[0:1], vcc
	s_cbranch_execz .LBB12_19
; %bb.14:                               ;   in Loop: Header=BB12_9 Depth=1
	v_cmp_ne_u32_e32 vcc, s4, v21
                                        ; implicit-def: $vgpr20
	s_and_saveexec_b64 s[2:3], vcc
	s_xor_b64 s[2:3], exec, s[2:3]
; %bb.15:                               ;   in Loop: Header=BB12_9 Depth=1
	v_lshlrev_b32_e32 v19, 2, v21
	ds_read_b32 v20, v19 offset:4100
; %bb.16:                               ;   in Loop: Header=BB12_9 Depth=1
	s_andn2_saveexec_b64 s[2:3], s[2:3]
	s_cbranch_execz .LBB12_18
; %bb.17:                               ;   in Loop: Header=BB12_9 Depth=1
	s_waitcnt lgkmcnt(0)
	v_add_u32_e32 v20, 8, v17
.LBB12_18:                              ;   in Loop: Header=BB12_9 Depth=1
	s_or_b64 exec, exec, s[2:3]
	v_lshlrev_b32_e32 v19, 1, v21
	ds_read_u16 v19, v19
	s_waitcnt lgkmcnt(1)
	v_add_u32_e32 v25, -1, v20
	v_mov_b32_e32 v20, v21
.LBB12_19:                              ;   in Loop: Header=BB12_9 Depth=1
	s_or_b64 exec, exec, s[0:1]
	v_add_u32_e32 v21, 1, v17
	v_cmp_eq_u32_e32 vcc, v21, v25
	s_waitcnt lgkmcnt(0)
	v_mov_b32_e32 v21, v19
	s_and_saveexec_b64 s[0:1], vcc
	s_cbranch_execz .LBB12_25
; %bb.20:                               ;   in Loop: Header=BB12_9 Depth=1
	v_add_u32_e32 v22, 1, v20
	v_cmp_ne_u32_e32 vcc, s4, v22
                                        ; implicit-def: $vgpr23
	s_and_saveexec_b64 s[2:3], vcc
	s_xor_b64 s[2:3], exec, s[2:3]
; %bb.21:                               ;   in Loop: Header=BB12_9 Depth=1
	v_lshlrev_b32_e32 v21, 2, v20
	ds_read_b32 v23, v21 offset:4104
; %bb.22:                               ;   in Loop: Header=BB12_9 Depth=1
	s_andn2_saveexec_b64 s[2:3], s[2:3]
	s_cbranch_execz .LBB12_24
; %bb.23:                               ;   in Loop: Header=BB12_9 Depth=1
	s_waitcnt lgkmcnt(0)
	v_add_u32_e32 v23, 9, v17
.LBB12_24:                              ;   in Loop: Header=BB12_9 Depth=1
	s_or_b64 exec, exec, s[2:3]
	v_lshlrev_b32_e32 v20, 1, v20
	ds_read_u16 v21, v20 offset:2
	s_waitcnt lgkmcnt(1)
	v_add_u32_e32 v25, -1, v23
	v_mov_b32_e32 v20, v22
.LBB12_25:                              ;   in Loop: Header=BB12_9 Depth=1
	s_or_b64 exec, exec, s[0:1]
	v_add_u32_e32 v22, 2, v17
	v_cmp_eq_u32_e32 vcc, v22, v25
	s_waitcnt lgkmcnt(0)
	v_mov_b32_e32 v22, v21
	s_and_saveexec_b64 s[0:1], vcc
	s_cbranch_execz .LBB12_31
; %bb.26:                               ;   in Loop: Header=BB12_9 Depth=1
	v_add_u32_e32 v23, 1, v20
	v_cmp_ne_u32_e32 vcc, s4, v23
                                        ; implicit-def: $vgpr24
	s_and_saveexec_b64 s[2:3], vcc
	s_xor_b64 s[2:3], exec, s[2:3]
; %bb.27:                               ;   in Loop: Header=BB12_9 Depth=1
	v_lshlrev_b32_e32 v22, 2, v20
	ds_read_b32 v24, v22 offset:4104
; %bb.28:                               ;   in Loop: Header=BB12_9 Depth=1
	s_andn2_saveexec_b64 s[2:3], s[2:3]
	s_cbranch_execz .LBB12_30
; %bb.29:                               ;   in Loop: Header=BB12_9 Depth=1
	s_waitcnt lgkmcnt(0)
	v_add_u32_e32 v24, 10, v17
.LBB12_30:                              ;   in Loop: Header=BB12_9 Depth=1
	s_or_b64 exec, exec, s[2:3]
	v_lshlrev_b32_e32 v20, 1, v20
	ds_read_u16 v22, v20 offset:2
	s_waitcnt lgkmcnt(1)
	v_add_u32_e32 v25, -1, v24
	v_mov_b32_e32 v20, v23
.LBB12_31:                              ;   in Loop: Header=BB12_9 Depth=1
	s_or_b64 exec, exec, s[0:1]
	v_add_u32_e32 v23, 3, v17
	v_cmp_eq_u32_e32 vcc, v23, v25
	s_waitcnt lgkmcnt(0)
	v_mov_b32_e32 v23, v22
	s_and_saveexec_b64 s[0:1], vcc
	s_cbranch_execz .LBB12_37
; %bb.32:                               ;   in Loop: Header=BB12_9 Depth=1
	v_add_u32_e32 v24, 1, v20
	v_cmp_ne_u32_e32 vcc, s4, v24
                                        ; implicit-def: $vgpr25
	s_and_saveexec_b64 s[2:3], vcc
	s_xor_b64 s[2:3], exec, s[2:3]
; %bb.33:                               ;   in Loop: Header=BB12_9 Depth=1
	v_lshlrev_b32_e32 v23, 2, v20
	ds_read_b32 v25, v23 offset:4104
; %bb.34:                               ;   in Loop: Header=BB12_9 Depth=1
	s_andn2_saveexec_b64 s[2:3], s[2:3]
	s_cbranch_execz .LBB12_36
; %bb.35:                               ;   in Loop: Header=BB12_9 Depth=1
	s_waitcnt lgkmcnt(0)
	v_add_u32_e32 v25, 11, v17
.LBB12_36:                              ;   in Loop: Header=BB12_9 Depth=1
	s_or_b64 exec, exec, s[2:3]
	v_lshlrev_b32_e32 v20, 1, v20
	ds_read_u16 v23, v20 offset:2
	s_waitcnt lgkmcnt(1)
	v_add_u32_e32 v25, -1, v25
	v_mov_b32_e32 v20, v24
.LBB12_37:                              ;   in Loop: Header=BB12_9 Depth=1
	s_or_b64 exec, exec, s[0:1]
	v_add_u32_e32 v24, 4, v17
	v_cmp_eq_u32_e32 vcc, v24, v25
	s_waitcnt lgkmcnt(0)
	v_mov_b32_e32 v24, v23
	s_and_saveexec_b64 s[0:1], vcc
	s_cbranch_execz .LBB12_43
; %bb.38:                               ;   in Loop: Header=BB12_9 Depth=1
	v_add_u32_e32 v26, 1, v20
	v_cmp_ne_u32_e32 vcc, s4, v26
                                        ; implicit-def: $vgpr25
	s_and_saveexec_b64 s[2:3], vcc
	s_xor_b64 s[2:3], exec, s[2:3]
; %bb.39:                               ;   in Loop: Header=BB12_9 Depth=1
	v_lshlrev_b32_e32 v24, 2, v20
	ds_read_b32 v25, v24 offset:4104
; %bb.40:                               ;   in Loop: Header=BB12_9 Depth=1
	s_andn2_saveexec_b64 s[2:3], s[2:3]
	s_cbranch_execz .LBB12_42
; %bb.41:                               ;   in Loop: Header=BB12_9 Depth=1
	s_waitcnt lgkmcnt(0)
	v_add_u32_e32 v25, 12, v17
.LBB12_42:                              ;   in Loop: Header=BB12_9 Depth=1
	s_or_b64 exec, exec, s[2:3]
	v_lshlrev_b32_e32 v20, 1, v20
	ds_read_u16 v24, v20 offset:2
	s_waitcnt lgkmcnt(1)
	v_add_u32_e32 v25, -1, v25
	v_mov_b32_e32 v20, v26
.LBB12_43:                              ;   in Loop: Header=BB12_9 Depth=1
	;; [unrolled: 30-line block ×3, first 2 shown]
	s_or_b64 exec, exec, s[0:1]
	v_add_u32_e32 v17, 6, v17
	v_cmp_eq_u32_e32 vcc, v17, v25
	s_waitcnt lgkmcnt(0)
	v_mov_b32_e32 v17, v26
	s_and_saveexec_b64 s[0:1], vcc
; %bb.50:                               ;   in Loop: Header=BB12_9 Depth=1
	v_lshlrev_b32_e32 v17, 1, v20
	ds_read_u16 v17, v17 offset:2
; %bb.51:                               ;   in Loop: Header=BB12_9 Depth=1
	s_or_b64 exec, exec, s[0:1]
	s_min_u32 s2, s5, 0x800
	v_cmp_gt_u32_e32 vcc, s2, v13
	s_and_saveexec_b64 s[0:1], vcc
	s_cbranch_execnz .LBB12_59
; %bb.52:                               ;   in Loop: Header=BB12_9 Depth=1
	s_or_b64 exec, exec, s[0:1]
	v_cmp_gt_u32_e32 vcc, s2, v3
	s_and_saveexec_b64 s[0:1], vcc
	s_cbranch_execnz .LBB12_60
.LBB12_53:                              ;   in Loop: Header=BB12_9 Depth=1
	s_or_b64 exec, exec, s[0:1]
	v_cmp_gt_u32_e32 vcc, s2, v4
	s_and_saveexec_b64 s[0:1], vcc
	s_cbranch_execnz .LBB12_61
.LBB12_54:                              ;   in Loop: Header=BB12_9 Depth=1
	s_or_b64 exec, exec, s[0:1]
	v_cmp_gt_u32_e32 vcc, s2, v5
	s_and_saveexec_b64 s[0:1], vcc
	s_cbranch_execnz .LBB12_62
.LBB12_55:                              ;   in Loop: Header=BB12_9 Depth=1
	s_or_b64 exec, exec, s[0:1]
	v_cmp_gt_u32_e32 vcc, s2, v6
	s_and_saveexec_b64 s[0:1], vcc
	s_cbranch_execnz .LBB12_63
.LBB12_56:                              ;   in Loop: Header=BB12_9 Depth=1
	s_or_b64 exec, exec, s[0:1]
	v_cmp_gt_u32_e32 vcc, s2, v7
	s_and_saveexec_b64 s[0:1], vcc
	s_cbranch_execnz .LBB12_64
.LBB12_57:                              ;   in Loop: Header=BB12_9 Depth=1
	s_or_b64 exec, exec, s[0:1]
	v_cmp_gt_u32_e32 vcc, s2, v8
	s_and_saveexec_b64 s[0:1], vcc
	s_cbranch_execnz .LBB12_65
.LBB12_58:                              ;   in Loop: Header=BB12_9 Depth=1
	s_or_b64 exec, exec, s[0:1]
	v_cmp_gt_u32_e32 vcc, s2, v9
	s_and_saveexec_b64 s[0:1], vcc
	s_cbranch_execz .LBB12_8
	s_branch .LBB12_66
.LBB12_59:                              ;   in Loop: Header=BB12_9 Depth=1
	global_store_short v[0:1], v18, off offset:-14
	s_or_b64 exec, exec, s[0:1]
	v_cmp_gt_u32_e32 vcc, s2, v3
	s_and_saveexec_b64 s[0:1], vcc
	s_cbranch_execz .LBB12_53
.LBB12_60:                              ;   in Loop: Header=BB12_9 Depth=1
	global_store_short v[0:1], v19, off offset:-12
	s_or_b64 exec, exec, s[0:1]
	v_cmp_gt_u32_e32 vcc, s2, v4
	s_and_saveexec_b64 s[0:1], vcc
	s_cbranch_execz .LBB12_54
.LBB12_61:                              ;   in Loop: Header=BB12_9 Depth=1
	global_store_short v[0:1], v21, off offset:-10
	s_or_b64 exec, exec, s[0:1]
	v_cmp_gt_u32_e32 vcc, s2, v5
	s_and_saveexec_b64 s[0:1], vcc
	s_cbranch_execz .LBB12_55
.LBB12_62:                              ;   in Loop: Header=BB12_9 Depth=1
	global_store_short v[0:1], v22, off offset:-8
	s_or_b64 exec, exec, s[0:1]
	v_cmp_gt_u32_e32 vcc, s2, v6
	s_and_saveexec_b64 s[0:1], vcc
	s_cbranch_execz .LBB12_56
.LBB12_63:                              ;   in Loop: Header=BB12_9 Depth=1
	global_store_short v[0:1], v23, off offset:-6
	s_or_b64 exec, exec, s[0:1]
	v_cmp_gt_u32_e32 vcc, s2, v7
	s_and_saveexec_b64 s[0:1], vcc
	s_cbranch_execz .LBB12_57
.LBB12_64:                              ;   in Loop: Header=BB12_9 Depth=1
	global_store_short v[0:1], v24, off offset:-4
	s_or_b64 exec, exec, s[0:1]
	v_cmp_gt_u32_e32 vcc, s2, v8
	s_and_saveexec_b64 s[0:1], vcc
	s_cbranch_execz .LBB12_58
.LBB12_65:                              ;   in Loop: Header=BB12_9 Depth=1
	global_store_short v[0:1], v26, off offset:-2
	s_or_b64 exec, exec, s[0:1]
	v_cmp_gt_u32_e32 vcc, s2, v9
	s_and_saveexec_b64 s[0:1], vcc
	s_cbranch_execz .LBB12_8
.LBB12_66:                              ;   in Loop: Header=BB12_9 Depth=1
	s_waitcnt lgkmcnt(0)
	global_store_short v[0:1], v17, off
	s_branch .LBB12_8
.LBB12_67:
	s_endpgm
	.section	.rodata,"a",@progbits
	.p2align	6, 0x0
	.amdhsa_kernel _Z30block_run_length_decode_kernelI12hip_bfloat16iLj256ELj8ELj8EEvPKT_PKT0_PS1_
		.amdhsa_group_segment_fixed_size 12288
		.amdhsa_private_segment_fixed_size 0
		.amdhsa_kernarg_size 24
		.amdhsa_user_sgpr_count 6
		.amdhsa_user_sgpr_private_segment_buffer 1
		.amdhsa_user_sgpr_dispatch_ptr 0
		.amdhsa_user_sgpr_queue_ptr 0
		.amdhsa_user_sgpr_kernarg_segment_ptr 1
		.amdhsa_user_sgpr_dispatch_id 0
		.amdhsa_user_sgpr_flat_scratch_init 0
		.amdhsa_user_sgpr_private_segment_size 0
		.amdhsa_uses_dynamic_stack 0
		.amdhsa_system_sgpr_private_segment_wavefront_offset 0
		.amdhsa_system_sgpr_workgroup_id_x 1
		.amdhsa_system_sgpr_workgroup_id_y 0
		.amdhsa_system_sgpr_workgroup_id_z 0
		.amdhsa_system_sgpr_workgroup_info 0
		.amdhsa_system_vgpr_workitem_id 0
		.amdhsa_next_free_vgpr 41
		.amdhsa_next_free_sgpr 98
		.amdhsa_reserve_vcc 1
		.amdhsa_reserve_flat_scratch 0
		.amdhsa_float_round_mode_32 0
		.amdhsa_float_round_mode_16_64 0
		.amdhsa_float_denorm_mode_32 3
		.amdhsa_float_denorm_mode_16_64 3
		.amdhsa_dx10_clamp 1
		.amdhsa_ieee_mode 1
		.amdhsa_fp16_overflow 0
		.amdhsa_exception_fp_ieee_invalid_op 0
		.amdhsa_exception_fp_denorm_src 0
		.amdhsa_exception_fp_ieee_div_zero 0
		.amdhsa_exception_fp_ieee_overflow 0
		.amdhsa_exception_fp_ieee_underflow 0
		.amdhsa_exception_fp_ieee_inexact 0
		.amdhsa_exception_int_div_zero 0
	.end_amdhsa_kernel
	.section	.text._Z30block_run_length_decode_kernelI12hip_bfloat16iLj256ELj8ELj8EEvPKT_PKT0_PS1_,"axG",@progbits,_Z30block_run_length_decode_kernelI12hip_bfloat16iLj256ELj8ELj8EEvPKT_PKT0_PS1_,comdat
.Lfunc_end12:
	.size	_Z30block_run_length_decode_kernelI12hip_bfloat16iLj256ELj8ELj8EEvPKT_PKT0_PS1_, .Lfunc_end12-_Z30block_run_length_decode_kernelI12hip_bfloat16iLj256ELj8ELj8EEvPKT_PKT0_PS1_
                                        ; -- End function
	.set _Z30block_run_length_decode_kernelI12hip_bfloat16iLj256ELj8ELj8EEvPKT_PKT0_PS1_.num_vgpr, 28
	.set _Z30block_run_length_decode_kernelI12hip_bfloat16iLj256ELj8ELj8EEvPKT_PKT0_PS1_.num_agpr, 0
	.set _Z30block_run_length_decode_kernelI12hip_bfloat16iLj256ELj8ELj8EEvPKT_PKT0_PS1_.numbered_sgpr, 8
	.set _Z30block_run_length_decode_kernelI12hip_bfloat16iLj256ELj8ELj8EEvPKT_PKT0_PS1_.num_named_barrier, 0
	.set _Z30block_run_length_decode_kernelI12hip_bfloat16iLj256ELj8ELj8EEvPKT_PKT0_PS1_.private_seg_size, 0
	.set _Z30block_run_length_decode_kernelI12hip_bfloat16iLj256ELj8ELj8EEvPKT_PKT0_PS1_.uses_vcc, 1
	.set _Z30block_run_length_decode_kernelI12hip_bfloat16iLj256ELj8ELj8EEvPKT_PKT0_PS1_.uses_flat_scratch, 0
	.set _Z30block_run_length_decode_kernelI12hip_bfloat16iLj256ELj8ELj8EEvPKT_PKT0_PS1_.has_dyn_sized_stack, 0
	.set _Z30block_run_length_decode_kernelI12hip_bfloat16iLj256ELj8ELj8EEvPKT_PKT0_PS1_.has_recursion, 0
	.set _Z30block_run_length_decode_kernelI12hip_bfloat16iLj256ELj8ELj8EEvPKT_PKT0_PS1_.has_indirect_call, 0
	.section	.AMDGPU.csdata,"",@progbits
; Kernel info:
; codeLenInByte = 2520
; TotalNumSgprs: 12
; NumVgprs: 28
; ScratchSize: 0
; MemoryBound: 0
; FloatMode: 240
; IeeeMode: 1
; LDSByteSize: 12288 bytes/workgroup (compile time only)
; SGPRBlocks: 12
; VGPRBlocks: 10
; NumSGPRsForWavesPerEU: 102
; NumVGPRsForWavesPerEU: 41
; Occupancy: 5
; WaveLimiterHint : 0
; COMPUTE_PGM_RSRC2:SCRATCH_EN: 0
; COMPUTE_PGM_RSRC2:USER_SGPR: 6
; COMPUTE_PGM_RSRC2:TRAP_HANDLER: 0
; COMPUTE_PGM_RSRC2:TGID_X_EN: 1
; COMPUTE_PGM_RSRC2:TGID_Y_EN: 0
; COMPUTE_PGM_RSRC2:TGID_Z_EN: 0
; COMPUTE_PGM_RSRC2:TIDIG_COMP_CNT: 0
	.section	.text._Z30block_run_length_decode_kernelI6__halfiLj256ELj8ELj8EEvPKT_PKT0_PS1_,"axG",@progbits,_Z30block_run_length_decode_kernelI6__halfiLj256ELj8ELj8EEvPKT_PKT0_PS1_,comdat
	.protected	_Z30block_run_length_decode_kernelI6__halfiLj256ELj8ELj8EEvPKT_PKT0_PS1_ ; -- Begin function _Z30block_run_length_decode_kernelI6__halfiLj256ELj8ELj8EEvPKT_PKT0_PS1_
	.globl	_Z30block_run_length_decode_kernelI6__halfiLj256ELj8ELj8EEvPKT_PKT0_PS1_
	.p2align	8
	.type	_Z30block_run_length_decode_kernelI6__halfiLj256ELj8ELj8EEvPKT_PKT0_PS1_,@function
_Z30block_run_length_decode_kernelI6__halfiLj256ELj8ELj8EEvPKT_PKT0_PS1_: ; @_Z30block_run_length_decode_kernelI6__halfiLj256ELj8ELj8EEvPKT_PKT0_PS1_
; %bb.0:
	s_load_dwordx4 s[0:3], s[4:5], 0x0
	v_lshlrev_b32_e32 v16, 3, v0
	v_lshl_or_b32 v13, s6, 11, v16
	v_mov_b32_e32 v14, 0
	v_lshlrev_b64 v[1:2], 2, v[13:14]
	s_waitcnt lgkmcnt(0)
	v_mov_b32_e32 v3, s3
	v_add_co_u32_e32 v1, vcc, s2, v1
	v_addc_co_u32_e32 v2, vcc, v3, v2, vcc
	global_load_dwordx4 v[9:12], v[1:2], off
	global_load_dwordx4 v[5:8], v[1:2], off offset:16
	v_lshlrev_b64 v[14:15], 1, v[13:14]
	v_mov_b32_e32 v2, s1
	v_add_co_u32_e32 v1, vcc, s0, v14
	v_addc_co_u32_e32 v2, vcc, v2, v15, vcc
	global_load_dwordx4 v[1:4], v[1:2], off
	v_mbcnt_lo_u32_b32 v17, -1, 0
	v_mbcnt_hi_u32_b32 v17, -1, v17
	v_and_b32_e32 v20, 15, v17
	v_cmp_ne_u32_e32 vcc, 0, v20
	v_bfe_i32 v21, v17, 4, 1
	v_or_b32_e32 v19, 63, v0
	v_lshrrev_b32_e32 v18, 6, v0
	s_waitcnt vmcnt(2)
	v_add_u32_e32 v22, v10, v9
	v_add3_u32 v22, v22, v11, v12
	s_waitcnt vmcnt(1)
	v_add3_u32 v22, v22, v5, v6
	v_add3_u32 v8, v22, v7, v8
	s_nop 1
	v_mov_b32_dpp v22, v8 row_shr:1 row_mask:0xf bank_mask:0xf
	v_cndmask_b32_e32 v22, 0, v22, vcc
	v_add_u32_e32 v8, v22, v8
	v_cmp_lt_u32_e32 vcc, 1, v20
	s_nop 0
	v_mov_b32_dpp v22, v8 row_shr:2 row_mask:0xf bank_mask:0xf
	v_cndmask_b32_e32 v22, 0, v22, vcc
	v_add_u32_e32 v8, v8, v22
	v_cmp_lt_u32_e32 vcc, 3, v20
	;; [unrolled: 5-line block ×4, first 2 shown]
	s_nop 0
	v_mov_b32_dpp v20, v8 row_bcast:15 row_mask:0xf bank_mask:0xf
	v_and_b32_e32 v20, v21, v20
	v_add_u32_e32 v8, v8, v20
	s_nop 1
	v_mov_b32_dpp v20, v8 row_bcast:31 row_mask:0xf bank_mask:0xf
	v_cndmask_b32_e32 v20, 0, v20, vcc
	v_add_u32_e32 v8, v8, v20
	v_cmp_eq_u32_e32 vcc, v0, v19
	s_and_saveexec_b64 s[0:1], vcc
; %bb.1:
	v_lshlrev_b32_e32 v19, 2, v18
	ds_write_b32 v19, v8
; %bb.2:
	s_or_b64 exec, exec, s[0:1]
	v_cmp_gt_u32_e32 vcc, 4, v0
	s_waitcnt vmcnt(0) lgkmcnt(0)
	s_barrier
	s_and_saveexec_b64 s[0:1], vcc
	s_cbranch_execz .LBB13_4
; %bb.3:
	v_lshlrev_b32_e32 v19, 2, v0
	ds_read_b32 v20, v19
	v_and_b32_e32 v21, 3, v17
	v_cmp_ne_u32_e32 vcc, 0, v21
	s_waitcnt lgkmcnt(0)
	v_mov_b32_dpp v22, v20 row_shr:1 row_mask:0xf bank_mask:0xf
	v_cndmask_b32_e32 v22, 0, v22, vcc
	v_add_u32_e32 v20, v22, v20
	v_cmp_lt_u32_e32 vcc, 1, v21
	s_nop 0
	v_mov_b32_dpp v22, v20 row_shr:2 row_mask:0xf bank_mask:0xf
	v_cndmask_b32_e32 v21, 0, v22, vcc
	v_add_u32_e32 v20, v20, v21
	ds_write_b32 v19, v20
.LBB13_4:
	s_or_b64 exec, exec, s[0:1]
	v_cmp_lt_u32_e32 vcc, 63, v0
	v_mov_b32_e32 v19, 0
	v_mov_b32_e32 v20, 0
	s_waitcnt lgkmcnt(0)
	s_barrier
	s_and_saveexec_b64 s[0:1], vcc
; %bb.5:
	v_lshl_add_u32 v18, v18, 2, -4
	ds_read_b32 v20, v18
; %bb.6:
	s_or_b64 exec, exec, s[0:1]
	v_subrev_co_u32_e32 v18, vcc, 1, v17
	v_and_b32_e32 v21, 64, v17
	v_cmp_lt_i32_e64 s[0:1], v18, v21
	v_cndmask_b32_e64 v17, v18, v17, s[0:1]
	s_waitcnt lgkmcnt(0)
	v_add_u32_e32 v8, v20, v8
	v_lshlrev_b32_e32 v17, 2, v17
	ds_bpermute_b32 v8, v17, v8
	ds_read_b32 v19, v19 offset:12
	s_mov_b32 s6, 0
	s_waitcnt lgkmcnt(0)
	s_barrier
	v_cndmask_b32_e32 v8, v8, v20, vcc
	v_cmp_ne_u32_e32 vcc, 0, v0
	v_cndmask_b32_e32 v8, 0, v8, vcc
	v_add_u32_e32 v9, v8, v9
	v_add_u32_e32 v10, v9, v10
	;; [unrolled: 1-line block ×7, first 2 shown]
	v_lshlrev_b32_e32 v7, 1, v16
	v_lshl_add_u32 v0, v0, 4, v7
	v_cmp_eq_u32_e32 vcc, 0, v19
	v_readfirstlane_b32 s7, v19
	ds_write_b64 v0, v[8:9] offset:4096
	ds_write2_b32 v7, v1, v2 offset1:1
	v_add_u32_e32 v1, 0x1000, v0
	s_and_b64 vcc, exec, vcc
	ds_write2_b64 v1, v[10:11], v[17:18] offset0:1 offset1:2
	ds_write2_b32 v7, v3, v4 offset0:2 offset1:3
	ds_write_b64 v0, v[5:6] offset:4120
	s_waitcnt lgkmcnt(0)
	s_barrier
	s_cbranch_vccnz .LBB13_67
; %bb.7:
	s_load_dwordx2 s[0:1], s[4:5], 0x10
	v_mov_b32_e32 v0, 0
	ds_read_b32 v9, v0 offset:8192
	v_or_b32_e32 v2, 1, v13
	v_or_b32_e32 v3, 2, v13
	s_waitcnt lgkmcnt(0)
	v_mov_b32_e32 v0, s1
	v_add_co_u32_e32 v1, vcc, s0, v14
	v_addc_co_u32_e32 v10, vcc, v0, v15, vcc
	v_add_co_u32_e32 v0, vcc, 14, v1
	v_or_b32_e32 v4, 3, v13
	v_or_b32_e32 v5, 4, v13
	;; [unrolled: 1-line block ×5, first 2 shown]
	v_addc_co_u32_e32 v1, vcc, 0, v10, vcc
	v_mov_b32_e32 v10, 0x401
	v_mov_b32_e32 v11, 0x800
	;; [unrolled: 1-line block ×5, first 2 shown]
	s_movk_i32 s4, 0x7ff
	s_mov_b32 s5, s7
	s_branch .LBB13_9
.LBB13_8:                               ;   in Loop: Header=BB13_9 Depth=1
	s_or_b64 exec, exec, s[0:1]
	s_addk_i32 s6, 0x800
	s_addk_i32 s5, 0xf800
	v_add_co_u32_e32 v0, vcc, 0x1000, v0
	s_cmp_lt_u32 s6, s7
	v_addc_co_u32_e32 v1, vcc, 0, v1, vcc
	s_cbranch_scc0 .LBB13_67
.LBB13_9:                               ; =>This Inner Loop Header: Depth=1
	s_waitcnt lgkmcnt(0)
	v_add_u32_e32 v17, s6, v16
	v_cmp_lt_u32_e32 vcc, v17, v9
	v_cndmask_b32_e32 v19, v14, v15, vcc
	v_lshlrev_b32_e32 v20, 2, v19
	ds_read_b32 v20, v20 offset:4096
	v_cndmask_b32_e64 v18, v10, 0, vcc
	v_cndmask_b32_e32 v21, v11, v12, vcc
	v_or_b32_e32 v22, 1, v19
	s_waitcnt lgkmcnt(0)
	v_cmp_lt_u32_e32 vcc, v17, v20
	v_cndmask_b32_e32 v18, v22, v18, vcc
	v_cndmask_b32_e32 v19, v21, v19, vcc
	v_sub_u32_e32 v20, v19, v18
	v_lshrrev_b16_e32 v21, 15, v20
	v_add_u16_e32 v20, v20, v21
	v_ashrrev_i16_e32 v20, 1, v20
	v_add_u32_sdwa v20, v18, sext(v20) dst_sel:DWORD dst_unused:UNUSED_PAD src0_sel:DWORD src1_sel:WORD_0
	v_min_i32_e32 v20, 0x7ff, v20
	v_lshlrev_b32_e32 v21, 2, v20
	ds_read_b32 v21, v21 offset:4096
	v_add_u32_e32 v22, 1, v20
	s_waitcnt lgkmcnt(0)
	v_cmp_lt_u32_e32 vcc, v17, v21
	v_cndmask_b32_e32 v18, v22, v18, vcc
	v_cndmask_b32_e32 v19, v19, v20, vcc
	v_sub_u32_e32 v20, v19, v18
	v_lshrrev_b16_e32 v21, 15, v20
	v_add_u16_e32 v20, v20, v21
	v_ashrrev_i16_e32 v20, 1, v20
	v_add_u32_sdwa v20, v18, sext(v20) dst_sel:DWORD dst_unused:UNUSED_PAD src0_sel:DWORD src1_sel:WORD_0
	v_min_i32_e32 v20, 0x7ff, v20
	v_lshlrev_b32_e32 v21, 2, v20
	ds_read_b32 v21, v21 offset:4096
	v_add_u32_e32 v22, 1, v20
	;; [unrolled: 13-line block ×8, first 2 shown]
	s_waitcnt lgkmcnt(0)
	v_cmp_lt_u32_e32 vcc, v17, v21
	v_cndmask_b32_e32 v18, v22, v18, vcc
	v_cndmask_b32_e32 v19, v19, v20, vcc
	v_sub_u32_e32 v20, v19, v18
	v_lshrrev_b32_e32 v21, 31, v20
	v_add_u32_e32 v20, v20, v21
	v_ashrrev_i32_e32 v20, 1, v20
	v_add_u32_e32 v20, v20, v18
	v_min_i32_e32 v20, 0x7ff, v20
	v_lshlrev_b32_e32 v21, 2, v20
	ds_read_b32 v21, v21 offset:4096
	v_add_u32_e32 v22, 1, v20
	s_waitcnt lgkmcnt(0)
	v_cmp_lt_u32_e32 vcc, v17, v21
	v_cndmask_b32_e32 v18, v22, v18, vcc
	v_cndmask_b32_e32 v19, v19, v20, vcc
	v_sub_u32_e32 v19, v19, v18
	v_lshrrev_b32_e32 v20, 31, v19
	v_add_u32_e32 v19, v19, v20
	v_ashrrev_i32_e32 v19, 1, v19
	v_add_u32_e32 v19, v19, v18
	v_min_i32_e32 v19, 0x7ff, v19
	v_lshlrev_b32_e32 v20, 2, v19
	ds_read_b32 v20, v20 offset:4096
	v_add_u32_e32 v19, 1, v19
	s_waitcnt lgkmcnt(0)
	v_cmp_lt_u32_e32 vcc, v17, v20
	v_cndmask_b32_e32 v21, v19, v18, vcc
	v_add_u32_e32 v20, -1, v21
	v_cmp_ne_u32_e32 vcc, s4, v20
                                        ; implicit-def: $vgpr19
	s_and_saveexec_b64 s[0:1], vcc
	s_xor_b64 s[0:1], exec, s[0:1]
; %bb.10:                               ;   in Loop: Header=BB13_9 Depth=1
	v_lshlrev_b32_e32 v18, 2, v21
	ds_read_b32 v19, v18 offset:4096
; %bb.11:                               ;   in Loop: Header=BB13_9 Depth=1
	s_andn2_saveexec_b64 s[0:1], s[0:1]
	s_cbranch_execz .LBB13_13
; %bb.12:                               ;   in Loop: Header=BB13_9 Depth=1
	s_waitcnt lgkmcnt(0)
	v_add_u32_e32 v19, 8, v17
.LBB13_13:                              ;   in Loop: Header=BB13_9 Depth=1
	s_or_b64 exec, exec, s[0:1]
	v_lshlrev_b32_e32 v18, 1, v20
	ds_read_u16 v18, v18
	s_waitcnt lgkmcnt(1)
	v_add_u32_e32 v25, -1, v19
	v_cmp_eq_u32_e32 vcc, v17, v25
	s_waitcnt lgkmcnt(0)
	v_mov_b32_e32 v19, v18
	s_and_saveexec_b64 s[0:1], vcc
	s_cbranch_execz .LBB13_19
; %bb.14:                               ;   in Loop: Header=BB13_9 Depth=1
	v_cmp_ne_u32_e32 vcc, s4, v21
                                        ; implicit-def: $vgpr20
	s_and_saveexec_b64 s[2:3], vcc
	s_xor_b64 s[2:3], exec, s[2:3]
; %bb.15:                               ;   in Loop: Header=BB13_9 Depth=1
	v_lshlrev_b32_e32 v19, 2, v21
	ds_read_b32 v20, v19 offset:4100
; %bb.16:                               ;   in Loop: Header=BB13_9 Depth=1
	s_andn2_saveexec_b64 s[2:3], s[2:3]
	s_cbranch_execz .LBB13_18
; %bb.17:                               ;   in Loop: Header=BB13_9 Depth=1
	s_waitcnt lgkmcnt(0)
	v_add_u32_e32 v20, 8, v17
.LBB13_18:                              ;   in Loop: Header=BB13_9 Depth=1
	s_or_b64 exec, exec, s[2:3]
	v_lshlrev_b32_e32 v19, 1, v21
	ds_read_u16 v19, v19
	s_waitcnt lgkmcnt(1)
	v_add_u32_e32 v25, -1, v20
	v_mov_b32_e32 v20, v21
.LBB13_19:                              ;   in Loop: Header=BB13_9 Depth=1
	s_or_b64 exec, exec, s[0:1]
	v_add_u32_e32 v21, 1, v17
	v_cmp_eq_u32_e32 vcc, v21, v25
	s_waitcnt lgkmcnt(0)
	v_mov_b32_e32 v21, v19
	s_and_saveexec_b64 s[0:1], vcc
	s_cbranch_execz .LBB13_25
; %bb.20:                               ;   in Loop: Header=BB13_9 Depth=1
	v_add_u32_e32 v22, 1, v20
	v_cmp_ne_u32_e32 vcc, s4, v22
                                        ; implicit-def: $vgpr23
	s_and_saveexec_b64 s[2:3], vcc
	s_xor_b64 s[2:3], exec, s[2:3]
; %bb.21:                               ;   in Loop: Header=BB13_9 Depth=1
	v_lshlrev_b32_e32 v21, 2, v20
	ds_read_b32 v23, v21 offset:4104
; %bb.22:                               ;   in Loop: Header=BB13_9 Depth=1
	s_andn2_saveexec_b64 s[2:3], s[2:3]
	s_cbranch_execz .LBB13_24
; %bb.23:                               ;   in Loop: Header=BB13_9 Depth=1
	s_waitcnt lgkmcnt(0)
	v_add_u32_e32 v23, 9, v17
.LBB13_24:                              ;   in Loop: Header=BB13_9 Depth=1
	s_or_b64 exec, exec, s[2:3]
	v_lshlrev_b32_e32 v20, 1, v20
	ds_read_u16 v21, v20 offset:2
	s_waitcnt lgkmcnt(1)
	v_add_u32_e32 v25, -1, v23
	v_mov_b32_e32 v20, v22
.LBB13_25:                              ;   in Loop: Header=BB13_9 Depth=1
	s_or_b64 exec, exec, s[0:1]
	v_add_u32_e32 v22, 2, v17
	v_cmp_eq_u32_e32 vcc, v22, v25
	s_waitcnt lgkmcnt(0)
	v_mov_b32_e32 v22, v21
	s_and_saveexec_b64 s[0:1], vcc
	s_cbranch_execz .LBB13_31
; %bb.26:                               ;   in Loop: Header=BB13_9 Depth=1
	v_add_u32_e32 v23, 1, v20
	v_cmp_ne_u32_e32 vcc, s4, v23
                                        ; implicit-def: $vgpr24
	s_and_saveexec_b64 s[2:3], vcc
	s_xor_b64 s[2:3], exec, s[2:3]
; %bb.27:                               ;   in Loop: Header=BB13_9 Depth=1
	v_lshlrev_b32_e32 v22, 2, v20
	ds_read_b32 v24, v22 offset:4104
; %bb.28:                               ;   in Loop: Header=BB13_9 Depth=1
	s_andn2_saveexec_b64 s[2:3], s[2:3]
	s_cbranch_execz .LBB13_30
; %bb.29:                               ;   in Loop: Header=BB13_9 Depth=1
	s_waitcnt lgkmcnt(0)
	v_add_u32_e32 v24, 10, v17
.LBB13_30:                              ;   in Loop: Header=BB13_9 Depth=1
	s_or_b64 exec, exec, s[2:3]
	v_lshlrev_b32_e32 v20, 1, v20
	ds_read_u16 v22, v20 offset:2
	s_waitcnt lgkmcnt(1)
	v_add_u32_e32 v25, -1, v24
	v_mov_b32_e32 v20, v23
.LBB13_31:                              ;   in Loop: Header=BB13_9 Depth=1
	s_or_b64 exec, exec, s[0:1]
	v_add_u32_e32 v23, 3, v17
	v_cmp_eq_u32_e32 vcc, v23, v25
	s_waitcnt lgkmcnt(0)
	v_mov_b32_e32 v23, v22
	s_and_saveexec_b64 s[0:1], vcc
	s_cbranch_execz .LBB13_37
; %bb.32:                               ;   in Loop: Header=BB13_9 Depth=1
	v_add_u32_e32 v24, 1, v20
	v_cmp_ne_u32_e32 vcc, s4, v24
                                        ; implicit-def: $vgpr25
	s_and_saveexec_b64 s[2:3], vcc
	s_xor_b64 s[2:3], exec, s[2:3]
; %bb.33:                               ;   in Loop: Header=BB13_9 Depth=1
	v_lshlrev_b32_e32 v23, 2, v20
	ds_read_b32 v25, v23 offset:4104
; %bb.34:                               ;   in Loop: Header=BB13_9 Depth=1
	s_andn2_saveexec_b64 s[2:3], s[2:3]
	s_cbranch_execz .LBB13_36
; %bb.35:                               ;   in Loop: Header=BB13_9 Depth=1
	s_waitcnt lgkmcnt(0)
	v_add_u32_e32 v25, 11, v17
.LBB13_36:                              ;   in Loop: Header=BB13_9 Depth=1
	s_or_b64 exec, exec, s[2:3]
	v_lshlrev_b32_e32 v20, 1, v20
	ds_read_u16 v23, v20 offset:2
	s_waitcnt lgkmcnt(1)
	v_add_u32_e32 v25, -1, v25
	v_mov_b32_e32 v20, v24
.LBB13_37:                              ;   in Loop: Header=BB13_9 Depth=1
	s_or_b64 exec, exec, s[0:1]
	v_add_u32_e32 v24, 4, v17
	v_cmp_eq_u32_e32 vcc, v24, v25
	s_waitcnt lgkmcnt(0)
	v_mov_b32_e32 v24, v23
	s_and_saveexec_b64 s[0:1], vcc
	s_cbranch_execz .LBB13_43
; %bb.38:                               ;   in Loop: Header=BB13_9 Depth=1
	v_add_u32_e32 v26, 1, v20
	v_cmp_ne_u32_e32 vcc, s4, v26
                                        ; implicit-def: $vgpr25
	s_and_saveexec_b64 s[2:3], vcc
	s_xor_b64 s[2:3], exec, s[2:3]
; %bb.39:                               ;   in Loop: Header=BB13_9 Depth=1
	v_lshlrev_b32_e32 v24, 2, v20
	ds_read_b32 v25, v24 offset:4104
; %bb.40:                               ;   in Loop: Header=BB13_9 Depth=1
	s_andn2_saveexec_b64 s[2:3], s[2:3]
	s_cbranch_execz .LBB13_42
; %bb.41:                               ;   in Loop: Header=BB13_9 Depth=1
	s_waitcnt lgkmcnt(0)
	v_add_u32_e32 v25, 12, v17
.LBB13_42:                              ;   in Loop: Header=BB13_9 Depth=1
	s_or_b64 exec, exec, s[2:3]
	v_lshlrev_b32_e32 v20, 1, v20
	ds_read_u16 v24, v20 offset:2
	s_waitcnt lgkmcnt(1)
	v_add_u32_e32 v25, -1, v25
	v_mov_b32_e32 v20, v26
.LBB13_43:                              ;   in Loop: Header=BB13_9 Depth=1
	;; [unrolled: 30-line block ×3, first 2 shown]
	s_or_b64 exec, exec, s[0:1]
	v_add_u32_e32 v17, 6, v17
	v_cmp_eq_u32_e32 vcc, v17, v25
	s_waitcnt lgkmcnt(0)
	v_mov_b32_e32 v17, v26
	s_and_saveexec_b64 s[0:1], vcc
; %bb.50:                               ;   in Loop: Header=BB13_9 Depth=1
	v_lshlrev_b32_e32 v17, 1, v20
	ds_read_u16 v17, v17 offset:2
; %bb.51:                               ;   in Loop: Header=BB13_9 Depth=1
	s_or_b64 exec, exec, s[0:1]
	s_min_u32 s2, s5, 0x800
	v_cmp_gt_u32_e32 vcc, s2, v13
	s_and_saveexec_b64 s[0:1], vcc
	s_cbranch_execnz .LBB13_59
; %bb.52:                               ;   in Loop: Header=BB13_9 Depth=1
	s_or_b64 exec, exec, s[0:1]
	v_cmp_gt_u32_e32 vcc, s2, v2
	s_and_saveexec_b64 s[0:1], vcc
	s_cbranch_execnz .LBB13_60
.LBB13_53:                              ;   in Loop: Header=BB13_9 Depth=1
	s_or_b64 exec, exec, s[0:1]
	v_cmp_gt_u32_e32 vcc, s2, v3
	s_and_saveexec_b64 s[0:1], vcc
	s_cbranch_execnz .LBB13_61
.LBB13_54:                              ;   in Loop: Header=BB13_9 Depth=1
	s_or_b64 exec, exec, s[0:1]
	v_cmp_gt_u32_e32 vcc, s2, v4
	s_and_saveexec_b64 s[0:1], vcc
	s_cbranch_execnz .LBB13_62
.LBB13_55:                              ;   in Loop: Header=BB13_9 Depth=1
	s_or_b64 exec, exec, s[0:1]
	v_cmp_gt_u32_e32 vcc, s2, v5
	s_and_saveexec_b64 s[0:1], vcc
	s_cbranch_execnz .LBB13_63
.LBB13_56:                              ;   in Loop: Header=BB13_9 Depth=1
	s_or_b64 exec, exec, s[0:1]
	v_cmp_gt_u32_e32 vcc, s2, v6
	s_and_saveexec_b64 s[0:1], vcc
	s_cbranch_execnz .LBB13_64
.LBB13_57:                              ;   in Loop: Header=BB13_9 Depth=1
	s_or_b64 exec, exec, s[0:1]
	v_cmp_gt_u32_e32 vcc, s2, v7
	s_and_saveexec_b64 s[0:1], vcc
	s_cbranch_execnz .LBB13_65
.LBB13_58:                              ;   in Loop: Header=BB13_9 Depth=1
	s_or_b64 exec, exec, s[0:1]
	v_cmp_gt_u32_e32 vcc, s2, v8
	s_and_saveexec_b64 s[0:1], vcc
	s_cbranch_execz .LBB13_8
	s_branch .LBB13_66
.LBB13_59:                              ;   in Loop: Header=BB13_9 Depth=1
	global_store_short v[0:1], v18, off offset:-14
	s_or_b64 exec, exec, s[0:1]
	v_cmp_gt_u32_e32 vcc, s2, v2
	s_and_saveexec_b64 s[0:1], vcc
	s_cbranch_execz .LBB13_53
.LBB13_60:                              ;   in Loop: Header=BB13_9 Depth=1
	global_store_short v[0:1], v19, off offset:-12
	s_or_b64 exec, exec, s[0:1]
	v_cmp_gt_u32_e32 vcc, s2, v3
	s_and_saveexec_b64 s[0:1], vcc
	s_cbranch_execz .LBB13_54
.LBB13_61:                              ;   in Loop: Header=BB13_9 Depth=1
	global_store_short v[0:1], v21, off offset:-10
	s_or_b64 exec, exec, s[0:1]
	v_cmp_gt_u32_e32 vcc, s2, v4
	s_and_saveexec_b64 s[0:1], vcc
	s_cbranch_execz .LBB13_55
.LBB13_62:                              ;   in Loop: Header=BB13_9 Depth=1
	global_store_short v[0:1], v22, off offset:-8
	s_or_b64 exec, exec, s[0:1]
	v_cmp_gt_u32_e32 vcc, s2, v5
	s_and_saveexec_b64 s[0:1], vcc
	s_cbranch_execz .LBB13_56
.LBB13_63:                              ;   in Loop: Header=BB13_9 Depth=1
	global_store_short v[0:1], v23, off offset:-6
	s_or_b64 exec, exec, s[0:1]
	v_cmp_gt_u32_e32 vcc, s2, v6
	s_and_saveexec_b64 s[0:1], vcc
	s_cbranch_execz .LBB13_57
.LBB13_64:                              ;   in Loop: Header=BB13_9 Depth=1
	global_store_short v[0:1], v24, off offset:-4
	s_or_b64 exec, exec, s[0:1]
	v_cmp_gt_u32_e32 vcc, s2, v7
	s_and_saveexec_b64 s[0:1], vcc
	s_cbranch_execz .LBB13_58
.LBB13_65:                              ;   in Loop: Header=BB13_9 Depth=1
	global_store_short v[0:1], v26, off offset:-2
	s_or_b64 exec, exec, s[0:1]
	v_cmp_gt_u32_e32 vcc, s2, v8
	s_and_saveexec_b64 s[0:1], vcc
	s_cbranch_execz .LBB13_8
.LBB13_66:                              ;   in Loop: Header=BB13_9 Depth=1
	s_waitcnt lgkmcnt(0)
	global_store_short v[0:1], v17, off
	s_branch .LBB13_8
.LBB13_67:
	s_endpgm
	.section	.rodata,"a",@progbits
	.p2align	6, 0x0
	.amdhsa_kernel _Z30block_run_length_decode_kernelI6__halfiLj256ELj8ELj8EEvPKT_PKT0_PS1_
		.amdhsa_group_segment_fixed_size 12288
		.amdhsa_private_segment_fixed_size 0
		.amdhsa_kernarg_size 24
		.amdhsa_user_sgpr_count 6
		.amdhsa_user_sgpr_private_segment_buffer 1
		.amdhsa_user_sgpr_dispatch_ptr 0
		.amdhsa_user_sgpr_queue_ptr 0
		.amdhsa_user_sgpr_kernarg_segment_ptr 1
		.amdhsa_user_sgpr_dispatch_id 0
		.amdhsa_user_sgpr_flat_scratch_init 0
		.amdhsa_user_sgpr_private_segment_size 0
		.amdhsa_uses_dynamic_stack 0
		.amdhsa_system_sgpr_private_segment_wavefront_offset 0
		.amdhsa_system_sgpr_workgroup_id_x 1
		.amdhsa_system_sgpr_workgroup_id_y 0
		.amdhsa_system_sgpr_workgroup_id_z 0
		.amdhsa_system_sgpr_workgroup_info 0
		.amdhsa_system_vgpr_workitem_id 0
		.amdhsa_next_free_vgpr 41
		.amdhsa_next_free_sgpr 98
		.amdhsa_reserve_vcc 1
		.amdhsa_reserve_flat_scratch 0
		.amdhsa_float_round_mode_32 0
		.amdhsa_float_round_mode_16_64 0
		.amdhsa_float_denorm_mode_32 3
		.amdhsa_float_denorm_mode_16_64 3
		.amdhsa_dx10_clamp 1
		.amdhsa_ieee_mode 1
		.amdhsa_fp16_overflow 0
		.amdhsa_exception_fp_ieee_invalid_op 0
		.amdhsa_exception_fp_denorm_src 0
		.amdhsa_exception_fp_ieee_div_zero 0
		.amdhsa_exception_fp_ieee_overflow 0
		.amdhsa_exception_fp_ieee_underflow 0
		.amdhsa_exception_fp_ieee_inexact 0
		.amdhsa_exception_int_div_zero 0
	.end_amdhsa_kernel
	.section	.text._Z30block_run_length_decode_kernelI6__halfiLj256ELj8ELj8EEvPKT_PKT0_PS1_,"axG",@progbits,_Z30block_run_length_decode_kernelI6__halfiLj256ELj8ELj8EEvPKT_PKT0_PS1_,comdat
.Lfunc_end13:
	.size	_Z30block_run_length_decode_kernelI6__halfiLj256ELj8ELj8EEvPKT_PKT0_PS1_, .Lfunc_end13-_Z30block_run_length_decode_kernelI6__halfiLj256ELj8ELj8EEvPKT_PKT0_PS1_
                                        ; -- End function
	.set _Z30block_run_length_decode_kernelI6__halfiLj256ELj8ELj8EEvPKT_PKT0_PS1_.num_vgpr, 28
	.set _Z30block_run_length_decode_kernelI6__halfiLj256ELj8ELj8EEvPKT_PKT0_PS1_.num_agpr, 0
	.set _Z30block_run_length_decode_kernelI6__halfiLj256ELj8ELj8EEvPKT_PKT0_PS1_.numbered_sgpr, 8
	.set _Z30block_run_length_decode_kernelI6__halfiLj256ELj8ELj8EEvPKT_PKT0_PS1_.num_named_barrier, 0
	.set _Z30block_run_length_decode_kernelI6__halfiLj256ELj8ELj8EEvPKT_PKT0_PS1_.private_seg_size, 0
	.set _Z30block_run_length_decode_kernelI6__halfiLj256ELj8ELj8EEvPKT_PKT0_PS1_.uses_vcc, 1
	.set _Z30block_run_length_decode_kernelI6__halfiLj256ELj8ELj8EEvPKT_PKT0_PS1_.uses_flat_scratch, 0
	.set _Z30block_run_length_decode_kernelI6__halfiLj256ELj8ELj8EEvPKT_PKT0_PS1_.has_dyn_sized_stack, 0
	.set _Z30block_run_length_decode_kernelI6__halfiLj256ELj8ELj8EEvPKT_PKT0_PS1_.has_recursion, 0
	.set _Z30block_run_length_decode_kernelI6__halfiLj256ELj8ELj8EEvPKT_PKT0_PS1_.has_indirect_call, 0
	.section	.AMDGPU.csdata,"",@progbits
; Kernel info:
; codeLenInByte = 2520
; TotalNumSgprs: 12
; NumVgprs: 28
; ScratchSize: 0
; MemoryBound: 0
; FloatMode: 240
; IeeeMode: 1
; LDSByteSize: 12288 bytes/workgroup (compile time only)
; SGPRBlocks: 12
; VGPRBlocks: 10
; NumSGPRsForWavesPerEU: 102
; NumVGPRsForWavesPerEU: 41
; Occupancy: 5
; WaveLimiterHint : 0
; COMPUTE_PGM_RSRC2:SCRATCH_EN: 0
; COMPUTE_PGM_RSRC2:USER_SGPR: 6
; COMPUTE_PGM_RSRC2:TRAP_HANDLER: 0
; COMPUTE_PGM_RSRC2:TGID_X_EN: 1
; COMPUTE_PGM_RSRC2:TGID_Y_EN: 0
; COMPUTE_PGM_RSRC2:TGID_Z_EN: 0
; COMPUTE_PGM_RSRC2:TIDIG_COMP_CNT: 0
	.section	.text._Z30block_run_length_decode_kernelIfiLj256ELj8ELj8EEvPKT_PKT0_PS0_,"axG",@progbits,_Z30block_run_length_decode_kernelIfiLj256ELj8ELj8EEvPKT_PKT0_PS0_,comdat
	.protected	_Z30block_run_length_decode_kernelIfiLj256ELj8ELj8EEvPKT_PKT0_PS0_ ; -- Begin function _Z30block_run_length_decode_kernelIfiLj256ELj8ELj8EEvPKT_PKT0_PS0_
	.globl	_Z30block_run_length_decode_kernelIfiLj256ELj8ELj8EEvPKT_PKT0_PS0_
	.p2align	8
	.type	_Z30block_run_length_decode_kernelIfiLj256ELj8ELj8EEvPKT_PKT0_PS0_,@function
_Z30block_run_length_decode_kernelIfiLj256ELj8ELj8EEvPKT_PKT0_PS0_: ; @_Z30block_run_length_decode_kernelIfiLj256ELj8ELj8EEvPKT_PKT0_PS0_
; %bb.0:
	s_load_dwordx4 s[0:3], s[4:5], 0x0
	v_lshlrev_b32_e32 v20, 3, v0
	v_lshl_or_b32 v17, s6, 11, v20
	v_mov_b32_e32 v18, 0
	v_lshlrev_b64 v[18:19], 2, v[17:18]
	s_waitcnt lgkmcnt(0)
	v_mov_b32_e32 v2, s3
	v_add_co_u32_e32 v1, vcc, s2, v18
	v_addc_co_u32_e32 v2, vcc, v2, v19, vcc
	global_load_dwordx4 v[13:16], v[1:2], off
	global_load_dwordx4 v[9:12], v[1:2], off offset:16
	v_mov_b32_e32 v1, s1
	v_add_co_u32_e32 v21, vcc, s0, v18
	v_addc_co_u32_e32 v22, vcc, v1, v19, vcc
	global_load_dwordx4 v[1:4], v[21:22], off offset:16
	global_load_dwordx4 v[5:8], v[21:22], off
	v_mbcnt_lo_u32_b32 v21, -1, 0
	v_mbcnt_hi_u32_b32 v21, -1, v21
	v_and_b32_e32 v24, 15, v21
	v_cmp_ne_u32_e32 vcc, 0, v24
	v_bfe_i32 v25, v21, 4, 1
	v_or_b32_e32 v23, 63, v0
	v_lshrrev_b32_e32 v22, 6, v0
	s_waitcnt vmcnt(3)
	v_add_u32_e32 v26, v14, v13
	v_add3_u32 v26, v26, v15, v16
	s_waitcnt vmcnt(2)
	v_add3_u32 v26, v26, v9, v10
	v_add3_u32 v12, v26, v11, v12
	s_nop 1
	v_mov_b32_dpp v26, v12 row_shr:1 row_mask:0xf bank_mask:0xf
	v_cndmask_b32_e32 v26, 0, v26, vcc
	v_add_u32_e32 v12, v26, v12
	v_cmp_lt_u32_e32 vcc, 1, v24
	s_nop 0
	v_mov_b32_dpp v26, v12 row_shr:2 row_mask:0xf bank_mask:0xf
	v_cndmask_b32_e32 v26, 0, v26, vcc
	v_add_u32_e32 v12, v12, v26
	v_cmp_lt_u32_e32 vcc, 3, v24
	;; [unrolled: 5-line block ×4, first 2 shown]
	s_nop 0
	v_mov_b32_dpp v24, v12 row_bcast:15 row_mask:0xf bank_mask:0xf
	v_and_b32_e32 v24, v25, v24
	v_add_u32_e32 v12, v12, v24
	s_nop 1
	v_mov_b32_dpp v24, v12 row_bcast:31 row_mask:0xf bank_mask:0xf
	v_cndmask_b32_e32 v24, 0, v24, vcc
	v_add_u32_e32 v12, v12, v24
	v_cmp_eq_u32_e32 vcc, v0, v23
	s_and_saveexec_b64 s[0:1], vcc
; %bb.1:
	v_lshlrev_b32_e32 v23, 2, v22
	ds_write_b32 v23, v12
; %bb.2:
	s_or_b64 exec, exec, s[0:1]
	v_cmp_gt_u32_e32 vcc, 4, v0
	s_waitcnt vmcnt(0) lgkmcnt(0)
	s_barrier
	s_and_saveexec_b64 s[0:1], vcc
	s_cbranch_execz .LBB14_4
; %bb.3:
	v_lshlrev_b32_e32 v23, 2, v0
	ds_read_b32 v24, v23
	v_and_b32_e32 v25, 3, v21
	v_cmp_ne_u32_e32 vcc, 0, v25
	s_waitcnt lgkmcnt(0)
	v_mov_b32_dpp v26, v24 row_shr:1 row_mask:0xf bank_mask:0xf
	v_cndmask_b32_e32 v26, 0, v26, vcc
	v_add_u32_e32 v24, v26, v24
	v_cmp_lt_u32_e32 vcc, 1, v25
	s_nop 0
	v_mov_b32_dpp v26, v24 row_shr:2 row_mask:0xf bank_mask:0xf
	v_cndmask_b32_e32 v25, 0, v26, vcc
	v_add_u32_e32 v24, v24, v25
	ds_write_b32 v23, v24
.LBB14_4:
	s_or_b64 exec, exec, s[0:1]
	v_cmp_lt_u32_e32 vcc, 63, v0
	v_mov_b32_e32 v23, 0
	v_mov_b32_e32 v24, 0
	s_waitcnt lgkmcnt(0)
	s_barrier
	s_and_saveexec_b64 s[0:1], vcc
; %bb.5:
	v_lshl_add_u32 v22, v22, 2, -4
	ds_read_b32 v24, v22
; %bb.6:
	s_or_b64 exec, exec, s[0:1]
	v_subrev_co_u32_e32 v22, vcc, 1, v21
	v_and_b32_e32 v25, 64, v21
	v_cmp_lt_i32_e64 s[0:1], v22, v25
	v_cndmask_b32_e64 v21, v22, v21, s[0:1]
	s_waitcnt lgkmcnt(0)
	v_add_u32_e32 v12, v24, v12
	v_lshlrev_b32_e32 v21, 2, v21
	ds_bpermute_b32 v12, v21, v12
	s_mov_b32 s6, 0
	s_waitcnt lgkmcnt(0)
	v_cndmask_b32_e32 v12, v12, v24, vcc
	v_cmp_ne_u32_e32 vcc, 0, v0
	v_cndmask_b32_e32 v12, 0, v12, vcc
	v_add_u32_e32 v13, v12, v13
	ds_read_b32 v0, v23 offset:12
	v_add_u32_e32 v14, v13, v14
	v_add_u32_e32 v15, v14, v15
	;; [unrolled: 1-line block ×5, first 2 shown]
	s_waitcnt lgkmcnt(0)
	v_cmp_eq_u32_e32 vcc, 0, v0
	v_add_u32_e32 v10, v9, v11
	v_readfirstlane_b32 s7, v0
	v_lshlrev_b32_e32 v11, 2, v20
	s_and_b64 vcc, exec, vcc
	s_barrier
	v_or_b32_e32 v16, 0x2000, v11
	ds_write2_b64 v11, v[5:6], v[7:8] offset1:1
	ds_write2_b64 v16, v[12:13], v[14:15] offset1:1
	v_add_u32_e32 v5, 0x2010, v11
	ds_write2_b64 v11, v[1:2], v[3:4] offset0:2 offset1:3
	ds_write2_b64 v5, v[21:22], v[9:10] offset1:1
	s_waitcnt lgkmcnt(0)
	s_barrier
	s_cbranch_vccnz .LBB14_67
; %bb.7:
	s_load_dwordx2 s[0:1], s[4:5], 0x10
	v_mov_b32_e32 v0, 0
	ds_read_b32 v2, v0 offset:12288
	v_or_b32_e32 v3, 1, v17
	v_or_b32_e32 v4, 2, v17
	s_waitcnt lgkmcnt(0)
	v_mov_b32_e32 v0, s1
	v_add_co_u32_e32 v1, vcc, s0, v18
	v_addc_co_u32_e32 v10, vcc, v0, v19, vcc
	v_add_co_u32_e32 v0, vcc, 28, v1
	v_or_b32_e32 v5, 3, v17
	v_or_b32_e32 v6, 4, v17
	;; [unrolled: 1-line block ×5, first 2 shown]
	v_addc_co_u32_e32 v1, vcc, 0, v10, vcc
	v_mov_b32_e32 v10, 0x401
	v_mov_b32_e32 v11, 0x800
	;; [unrolled: 1-line block ×5, first 2 shown]
	s_movk_i32 s4, 0x7ff
	s_mov_b32 s5, s7
	s_branch .LBB14_9
.LBB14_8:                               ;   in Loop: Header=BB14_9 Depth=1
	s_or_b64 exec, exec, s[0:1]
	s_addk_i32 s6, 0x800
	s_addk_i32 s5, 0xf800
	v_add_co_u32_e32 v0, vcc, 0x2000, v0
	s_cmp_lt_u32 s6, s7
	v_addc_co_u32_e32 v1, vcc, 0, v1, vcc
	s_cbranch_scc0 .LBB14_67
.LBB14_9:                               ; =>This Inner Loop Header: Depth=1
	s_waitcnt lgkmcnt(0)
	v_add_u32_e32 v15, s6, v20
	v_cmp_lt_u32_e32 vcc, v15, v2
	v_cndmask_b32_e32 v18, v13, v14, vcc
	v_lshlrev_b32_e32 v19, 2, v18
	ds_read_b32 v19, v19 offset:8192
	v_cndmask_b32_e64 v16, v10, 0, vcc
	v_cndmask_b32_e32 v21, v11, v12, vcc
	v_or_b32_e32 v22, 1, v18
	s_waitcnt lgkmcnt(0)
	v_cmp_lt_u32_e32 vcc, v15, v19
	v_cndmask_b32_e32 v16, v22, v16, vcc
	v_cndmask_b32_e32 v18, v21, v18, vcc
	v_sub_u32_e32 v19, v18, v16
	v_lshrrev_b16_e32 v21, 15, v19
	v_add_u16_e32 v19, v19, v21
	v_ashrrev_i16_e32 v19, 1, v19
	v_add_u32_sdwa v19, v16, sext(v19) dst_sel:DWORD dst_unused:UNUSED_PAD src0_sel:DWORD src1_sel:WORD_0
	v_min_i32_e32 v19, 0x7ff, v19
	v_lshlrev_b32_e32 v21, 2, v19
	ds_read_b32 v21, v21 offset:8192
	v_add_u32_e32 v22, 1, v19
	s_waitcnt lgkmcnt(0)
	v_cmp_lt_u32_e32 vcc, v15, v21
	v_cndmask_b32_e32 v16, v22, v16, vcc
	v_cndmask_b32_e32 v18, v18, v19, vcc
	v_sub_u32_e32 v19, v18, v16
	v_lshrrev_b16_e32 v21, 15, v19
	v_add_u16_e32 v19, v19, v21
	v_ashrrev_i16_e32 v19, 1, v19
	v_add_u32_sdwa v19, v16, sext(v19) dst_sel:DWORD dst_unused:UNUSED_PAD src0_sel:DWORD src1_sel:WORD_0
	v_min_i32_e32 v19, 0x7ff, v19
	v_lshlrev_b32_e32 v21, 2, v19
	ds_read_b32 v21, v21 offset:8192
	v_add_u32_e32 v22, 1, v19
	;; [unrolled: 13-line block ×8, first 2 shown]
	s_waitcnt lgkmcnt(0)
	v_cmp_lt_u32_e32 vcc, v15, v21
	v_cndmask_b32_e32 v16, v22, v16, vcc
	v_cndmask_b32_e32 v18, v18, v19, vcc
	v_sub_u32_e32 v19, v18, v16
	v_lshrrev_b32_e32 v21, 31, v19
	v_add_u32_e32 v19, v19, v21
	v_ashrrev_i32_e32 v19, 1, v19
	v_add_u32_e32 v19, v19, v16
	v_min_i32_e32 v19, 0x7ff, v19
	v_lshlrev_b32_e32 v21, 2, v19
	ds_read_b32 v21, v21 offset:8192
	v_add_u32_e32 v22, 1, v19
	s_waitcnt lgkmcnt(0)
	v_cmp_lt_u32_e32 vcc, v15, v21
	v_cndmask_b32_e32 v16, v22, v16, vcc
	v_cndmask_b32_e32 v18, v18, v19, vcc
	v_sub_u32_e32 v18, v18, v16
	v_lshrrev_b32_e32 v19, 31, v18
	v_add_u32_e32 v18, v18, v19
	v_ashrrev_i32_e32 v18, 1, v18
	v_add_u32_e32 v18, v18, v16
	v_min_i32_e32 v18, 0x7ff, v18
	v_lshlrev_b32_e32 v19, 2, v18
	ds_read_b32 v19, v19 offset:8192
	v_add_u32_e32 v18, 1, v18
	s_waitcnt lgkmcnt(0)
	v_cmp_lt_u32_e32 vcc, v15, v19
	v_cndmask_b32_e32 v19, v18, v16, vcc
	v_add_u32_e32 v23, -1, v19
	v_cmp_ne_u32_e32 vcc, s4, v23
                                        ; implicit-def: $vgpr18
	s_and_saveexec_b64 s[0:1], vcc
	s_xor_b64 s[0:1], exec, s[0:1]
; %bb.10:                               ;   in Loop: Header=BB14_9 Depth=1
	v_lshlrev_b32_e32 v16, 2, v19
	ds_read_b32 v18, v16 offset:8192
; %bb.11:                               ;   in Loop: Header=BB14_9 Depth=1
	s_andn2_saveexec_b64 s[0:1], s[0:1]
	s_cbranch_execz .LBB14_13
; %bb.12:                               ;   in Loop: Header=BB14_9 Depth=1
	s_waitcnt lgkmcnt(0)
	v_add_u32_e32 v18, 8, v15
.LBB14_13:                              ;   in Loop: Header=BB14_9 Depth=1
	s_or_b64 exec, exec, s[0:1]
	v_lshlrev_b32_e32 v16, 2, v23
	ds_read_b32 v16, v16
	s_waitcnt lgkmcnt(1)
	v_add_u32_e32 v25, -1, v18
	v_cmp_eq_u32_e32 vcc, v15, v25
	s_waitcnt lgkmcnt(0)
	v_mov_b32_e32 v18, v16
	s_and_saveexec_b64 s[0:1], vcc
	s_cbranch_execz .LBB14_19
; %bb.14:                               ;   in Loop: Header=BB14_9 Depth=1
	v_cmp_ne_u32_e32 vcc, s4, v19
	v_lshlrev_b32_e32 v18, 2, v19
                                        ; implicit-def: $vgpr21
	s_and_saveexec_b64 s[2:3], vcc
	s_xor_b64 s[2:3], exec, s[2:3]
; %bb.15:                               ;   in Loop: Header=BB14_9 Depth=1
	ds_read_b32 v21, v18 offset:8196
; %bb.16:                               ;   in Loop: Header=BB14_9 Depth=1
	s_andn2_saveexec_b64 s[2:3], s[2:3]
	s_cbranch_execz .LBB14_18
; %bb.17:                               ;   in Loop: Header=BB14_9 Depth=1
	s_waitcnt lgkmcnt(0)
	v_add_u32_e32 v21, 8, v15
.LBB14_18:                              ;   in Loop: Header=BB14_9 Depth=1
	s_or_b64 exec, exec, s[2:3]
	ds_read_b32 v18, v18
	s_waitcnt lgkmcnt(1)
	v_add_u32_e32 v25, -1, v21
	v_mov_b32_e32 v23, v19
.LBB14_19:                              ;   in Loop: Header=BB14_9 Depth=1
	s_or_b64 exec, exec, s[0:1]
	v_add_u32_e32 v19, 1, v15
	v_cmp_eq_u32_e32 vcc, v19, v25
	s_waitcnt lgkmcnt(0)
	v_mov_b32_e32 v19, v18
	s_and_saveexec_b64 s[0:1], vcc
	s_cbranch_execz .LBB14_25
; %bb.20:                               ;   in Loop: Header=BB14_9 Depth=1
	v_add_u32_e32 v21, 1, v23
	v_cmp_ne_u32_e32 vcc, s4, v21
	v_lshlrev_b32_e32 v19, 2, v23
                                        ; implicit-def: $vgpr22
	s_and_saveexec_b64 s[2:3], vcc
	s_xor_b64 s[2:3], exec, s[2:3]
; %bb.21:                               ;   in Loop: Header=BB14_9 Depth=1
	ds_read_b32 v22, v19 offset:8200
; %bb.22:                               ;   in Loop: Header=BB14_9 Depth=1
	s_andn2_saveexec_b64 s[2:3], s[2:3]
	s_cbranch_execz .LBB14_24
; %bb.23:                               ;   in Loop: Header=BB14_9 Depth=1
	s_waitcnt lgkmcnt(0)
	v_add_u32_e32 v22, 9, v15
.LBB14_24:                              ;   in Loop: Header=BB14_9 Depth=1
	s_or_b64 exec, exec, s[2:3]
	ds_read_b32 v19, v19 offset:4
	s_waitcnt lgkmcnt(1)
	v_add_u32_e32 v25, -1, v22
	v_mov_b32_e32 v23, v21
.LBB14_25:                              ;   in Loop: Header=BB14_9 Depth=1
	s_or_b64 exec, exec, s[0:1]
	v_add_u32_e32 v21, 2, v15
	v_cmp_eq_u32_e32 vcc, v21, v25
	s_waitcnt lgkmcnt(0)
	v_mov_b32_e32 v21, v19
	s_and_saveexec_b64 s[0:1], vcc
	s_cbranch_execz .LBB14_31
; %bb.26:                               ;   in Loop: Header=BB14_9 Depth=1
	v_add_u32_e32 v22, 1, v23
	v_cmp_ne_u32_e32 vcc, s4, v22
	v_lshlrev_b32_e32 v21, 2, v23
                                        ; implicit-def: $vgpr23
	s_and_saveexec_b64 s[2:3], vcc
	s_xor_b64 s[2:3], exec, s[2:3]
; %bb.27:                               ;   in Loop: Header=BB14_9 Depth=1
	ds_read_b32 v23, v21 offset:8200
; %bb.28:                               ;   in Loop: Header=BB14_9 Depth=1
	s_andn2_saveexec_b64 s[2:3], s[2:3]
	s_cbranch_execz .LBB14_30
; %bb.29:                               ;   in Loop: Header=BB14_9 Depth=1
	s_waitcnt lgkmcnt(0)
	v_add_u32_e32 v23, 10, v15
.LBB14_30:                              ;   in Loop: Header=BB14_9 Depth=1
	s_or_b64 exec, exec, s[2:3]
	ds_read_b32 v21, v21 offset:4
	s_waitcnt lgkmcnt(1)
	v_add_u32_e32 v25, -1, v23
	v_mov_b32_e32 v23, v22
.LBB14_31:                              ;   in Loop: Header=BB14_9 Depth=1
	s_or_b64 exec, exec, s[0:1]
	v_add_u32_e32 v22, 3, v15
	v_cmp_eq_u32_e32 vcc, v22, v25
	s_waitcnt lgkmcnt(0)
	v_mov_b32_e32 v22, v21
	s_and_saveexec_b64 s[0:1], vcc
	s_cbranch_execz .LBB14_37
; %bb.32:                               ;   in Loop: Header=BB14_9 Depth=1
	v_add_u32_e32 v24, 1, v23
	v_cmp_ne_u32_e32 vcc, s4, v24
	v_lshlrev_b32_e32 v22, 2, v23
                                        ; implicit-def: $vgpr23
	s_and_saveexec_b64 s[2:3], vcc
	s_xor_b64 s[2:3], exec, s[2:3]
; %bb.33:                               ;   in Loop: Header=BB14_9 Depth=1
	ds_read_b32 v23, v22 offset:8200
; %bb.34:                               ;   in Loop: Header=BB14_9 Depth=1
	s_andn2_saveexec_b64 s[2:3], s[2:3]
	s_cbranch_execz .LBB14_36
; %bb.35:                               ;   in Loop: Header=BB14_9 Depth=1
	s_waitcnt lgkmcnt(0)
	v_add_u32_e32 v23, 11, v15
.LBB14_36:                              ;   in Loop: Header=BB14_9 Depth=1
	s_or_b64 exec, exec, s[2:3]
	ds_read_b32 v22, v22 offset:4
	s_waitcnt lgkmcnt(1)
	v_add_u32_e32 v25, -1, v23
	v_mov_b32_e32 v23, v24
.LBB14_37:                              ;   in Loop: Header=BB14_9 Depth=1
	s_or_b64 exec, exec, s[0:1]
	v_add_u32_e32 v24, 4, v15
	v_cmp_eq_u32_e32 vcc, v24, v25
	s_waitcnt lgkmcnt(0)
	v_mov_b32_e32 v24, v22
	s_and_saveexec_b64 s[0:1], vcc
	s_cbranch_execz .LBB14_43
; %bb.38:                               ;   in Loop: Header=BB14_9 Depth=1
	v_add_u32_e32 v26, 1, v23
	v_cmp_ne_u32_e32 vcc, s4, v26
	v_lshlrev_b32_e32 v23, 2, v23
                                        ; implicit-def: $vgpr25
	s_and_saveexec_b64 s[2:3], vcc
	s_xor_b64 s[2:3], exec, s[2:3]
; %bb.39:                               ;   in Loop: Header=BB14_9 Depth=1
	ds_read_b32 v25, v23 offset:8200
; %bb.40:                               ;   in Loop: Header=BB14_9 Depth=1
	s_andn2_saveexec_b64 s[2:3], s[2:3]
	s_cbranch_execz .LBB14_42
; %bb.41:                               ;   in Loop: Header=BB14_9 Depth=1
	s_waitcnt lgkmcnt(0)
	v_add_u32_e32 v25, 12, v15
.LBB14_42:                              ;   in Loop: Header=BB14_9 Depth=1
	s_or_b64 exec, exec, s[2:3]
	ds_read_b32 v24, v23 offset:4
	s_waitcnt lgkmcnt(1)
	v_add_u32_e32 v25, -1, v25
	v_mov_b32_e32 v23, v26
.LBB14_43:                              ;   in Loop: Header=BB14_9 Depth=1
	s_or_b64 exec, exec, s[0:1]
	v_add_u32_e32 v26, 5, v15
	v_cmp_eq_u32_e32 vcc, v26, v25
	s_waitcnt lgkmcnt(0)
	v_mov_b32_e32 v26, v24
	s_and_saveexec_b64 s[0:1], vcc
	s_cbranch_execz .LBB14_49
; %bb.44:                               ;   in Loop: Header=BB14_9 Depth=1
	v_add_u32_e32 v27, 1, v23
	v_cmp_ne_u32_e32 vcc, s4, v27
	v_lshlrev_b32_e32 v23, 2, v23
                                        ; implicit-def: $vgpr25
	s_and_saveexec_b64 s[2:3], vcc
	s_xor_b64 s[2:3], exec, s[2:3]
; %bb.45:                               ;   in Loop: Header=BB14_9 Depth=1
	ds_read_b32 v25, v23 offset:8200
; %bb.46:                               ;   in Loop: Header=BB14_9 Depth=1
	s_andn2_saveexec_b64 s[2:3], s[2:3]
	s_cbranch_execz .LBB14_48
; %bb.47:                               ;   in Loop: Header=BB14_9 Depth=1
	s_waitcnt lgkmcnt(0)
	v_add_u32_e32 v25, 13, v15
.LBB14_48:                              ;   in Loop: Header=BB14_9 Depth=1
	s_or_b64 exec, exec, s[2:3]
	ds_read_b32 v26, v23 offset:4
	s_waitcnt lgkmcnt(1)
	v_add_u32_e32 v25, -1, v25
	v_mov_b32_e32 v23, v27
.LBB14_49:                              ;   in Loop: Header=BB14_9 Depth=1
	s_or_b64 exec, exec, s[0:1]
	v_add_u32_e32 v15, 6, v15
	v_cmp_eq_u32_e32 vcc, v15, v25
	s_waitcnt lgkmcnt(0)
	v_mov_b32_e32 v15, v26
	s_and_saveexec_b64 s[0:1], vcc
; %bb.50:                               ;   in Loop: Header=BB14_9 Depth=1
	v_lshlrev_b32_e32 v15, 2, v23
	ds_read_b32 v15, v15 offset:4
; %bb.51:                               ;   in Loop: Header=BB14_9 Depth=1
	s_or_b64 exec, exec, s[0:1]
	s_min_u32 s2, s5, 0x800
	v_cmp_gt_u32_e32 vcc, s2, v17
	s_and_saveexec_b64 s[0:1], vcc
	s_cbranch_execnz .LBB14_59
; %bb.52:                               ;   in Loop: Header=BB14_9 Depth=1
	s_or_b64 exec, exec, s[0:1]
	v_cmp_gt_u32_e32 vcc, s2, v3
	s_and_saveexec_b64 s[0:1], vcc
	s_cbranch_execnz .LBB14_60
.LBB14_53:                              ;   in Loop: Header=BB14_9 Depth=1
	s_or_b64 exec, exec, s[0:1]
	v_cmp_gt_u32_e32 vcc, s2, v4
	s_and_saveexec_b64 s[0:1], vcc
	s_cbranch_execnz .LBB14_61
.LBB14_54:                              ;   in Loop: Header=BB14_9 Depth=1
	s_or_b64 exec, exec, s[0:1]
	v_cmp_gt_u32_e32 vcc, s2, v5
	s_and_saveexec_b64 s[0:1], vcc
	s_cbranch_execnz .LBB14_62
.LBB14_55:                              ;   in Loop: Header=BB14_9 Depth=1
	s_or_b64 exec, exec, s[0:1]
	v_cmp_gt_u32_e32 vcc, s2, v6
	s_and_saveexec_b64 s[0:1], vcc
	s_cbranch_execnz .LBB14_63
.LBB14_56:                              ;   in Loop: Header=BB14_9 Depth=1
	s_or_b64 exec, exec, s[0:1]
	v_cmp_gt_u32_e32 vcc, s2, v7
	s_and_saveexec_b64 s[0:1], vcc
	s_cbranch_execnz .LBB14_64
.LBB14_57:                              ;   in Loop: Header=BB14_9 Depth=1
	s_or_b64 exec, exec, s[0:1]
	v_cmp_gt_u32_e32 vcc, s2, v8
	s_and_saveexec_b64 s[0:1], vcc
	s_cbranch_execnz .LBB14_65
.LBB14_58:                              ;   in Loop: Header=BB14_9 Depth=1
	s_or_b64 exec, exec, s[0:1]
	v_cmp_gt_u32_e32 vcc, s2, v9
	s_and_saveexec_b64 s[0:1], vcc
	s_cbranch_execz .LBB14_8
	s_branch .LBB14_66
.LBB14_59:                              ;   in Loop: Header=BB14_9 Depth=1
	global_store_dword v[0:1], v16, off offset:-28
	s_or_b64 exec, exec, s[0:1]
	v_cmp_gt_u32_e32 vcc, s2, v3
	s_and_saveexec_b64 s[0:1], vcc
	s_cbranch_execz .LBB14_53
.LBB14_60:                              ;   in Loop: Header=BB14_9 Depth=1
	global_store_dword v[0:1], v18, off offset:-24
	s_or_b64 exec, exec, s[0:1]
	v_cmp_gt_u32_e32 vcc, s2, v4
	s_and_saveexec_b64 s[0:1], vcc
	s_cbranch_execz .LBB14_54
.LBB14_61:                              ;   in Loop: Header=BB14_9 Depth=1
	global_store_dword v[0:1], v19, off offset:-20
	s_or_b64 exec, exec, s[0:1]
	v_cmp_gt_u32_e32 vcc, s2, v5
	s_and_saveexec_b64 s[0:1], vcc
	s_cbranch_execz .LBB14_55
.LBB14_62:                              ;   in Loop: Header=BB14_9 Depth=1
	global_store_dword v[0:1], v21, off offset:-16
	s_or_b64 exec, exec, s[0:1]
	v_cmp_gt_u32_e32 vcc, s2, v6
	s_and_saveexec_b64 s[0:1], vcc
	s_cbranch_execz .LBB14_56
.LBB14_63:                              ;   in Loop: Header=BB14_9 Depth=1
	global_store_dword v[0:1], v22, off offset:-12
	s_or_b64 exec, exec, s[0:1]
	v_cmp_gt_u32_e32 vcc, s2, v7
	s_and_saveexec_b64 s[0:1], vcc
	s_cbranch_execz .LBB14_57
.LBB14_64:                              ;   in Loop: Header=BB14_9 Depth=1
	global_store_dword v[0:1], v24, off offset:-8
	s_or_b64 exec, exec, s[0:1]
	v_cmp_gt_u32_e32 vcc, s2, v8
	s_and_saveexec_b64 s[0:1], vcc
	s_cbranch_execz .LBB14_58
.LBB14_65:                              ;   in Loop: Header=BB14_9 Depth=1
	global_store_dword v[0:1], v26, off offset:-4
	s_or_b64 exec, exec, s[0:1]
	v_cmp_gt_u32_e32 vcc, s2, v9
	s_and_saveexec_b64 s[0:1], vcc
	s_cbranch_execz .LBB14_8
.LBB14_66:                              ;   in Loop: Header=BB14_9 Depth=1
	s_waitcnt lgkmcnt(0)
	global_store_dword v[0:1], v15, off
	s_branch .LBB14_8
.LBB14_67:
	s_endpgm
	.section	.rodata,"a",@progbits
	.p2align	6, 0x0
	.amdhsa_kernel _Z30block_run_length_decode_kernelIfiLj256ELj8ELj8EEvPKT_PKT0_PS0_
		.amdhsa_group_segment_fixed_size 16384
		.amdhsa_private_segment_fixed_size 0
		.amdhsa_kernarg_size 24
		.amdhsa_user_sgpr_count 6
		.amdhsa_user_sgpr_private_segment_buffer 1
		.amdhsa_user_sgpr_dispatch_ptr 0
		.amdhsa_user_sgpr_queue_ptr 0
		.amdhsa_user_sgpr_kernarg_segment_ptr 1
		.amdhsa_user_sgpr_dispatch_id 0
		.amdhsa_user_sgpr_flat_scratch_init 0
		.amdhsa_user_sgpr_private_segment_size 0
		.amdhsa_uses_dynamic_stack 0
		.amdhsa_system_sgpr_private_segment_wavefront_offset 0
		.amdhsa_system_sgpr_workgroup_id_x 1
		.amdhsa_system_sgpr_workgroup_id_y 0
		.amdhsa_system_sgpr_workgroup_id_z 0
		.amdhsa_system_sgpr_workgroup_info 0
		.amdhsa_system_vgpr_workitem_id 0
		.amdhsa_next_free_vgpr 49
		.amdhsa_next_free_sgpr 98
		.amdhsa_reserve_vcc 1
		.amdhsa_reserve_flat_scratch 0
		.amdhsa_float_round_mode_32 0
		.amdhsa_float_round_mode_16_64 0
		.amdhsa_float_denorm_mode_32 3
		.amdhsa_float_denorm_mode_16_64 3
		.amdhsa_dx10_clamp 1
		.amdhsa_ieee_mode 1
		.amdhsa_fp16_overflow 0
		.amdhsa_exception_fp_ieee_invalid_op 0
		.amdhsa_exception_fp_denorm_src 0
		.amdhsa_exception_fp_ieee_div_zero 0
		.amdhsa_exception_fp_ieee_overflow 0
		.amdhsa_exception_fp_ieee_underflow 0
		.amdhsa_exception_fp_ieee_inexact 0
		.amdhsa_exception_int_div_zero 0
	.end_amdhsa_kernel
	.section	.text._Z30block_run_length_decode_kernelIfiLj256ELj8ELj8EEvPKT_PKT0_PS0_,"axG",@progbits,_Z30block_run_length_decode_kernelIfiLj256ELj8ELj8EEvPKT_PKT0_PS0_,comdat
.Lfunc_end14:
	.size	_Z30block_run_length_decode_kernelIfiLj256ELj8ELj8EEvPKT_PKT0_PS0_, .Lfunc_end14-_Z30block_run_length_decode_kernelIfiLj256ELj8ELj8EEvPKT_PKT0_PS0_
                                        ; -- End function
	.set _Z30block_run_length_decode_kernelIfiLj256ELj8ELj8EEvPKT_PKT0_PS0_.num_vgpr, 28
	.set _Z30block_run_length_decode_kernelIfiLj256ELj8ELj8EEvPKT_PKT0_PS0_.num_agpr, 0
	.set _Z30block_run_length_decode_kernelIfiLj256ELj8ELj8EEvPKT_PKT0_PS0_.numbered_sgpr, 8
	.set _Z30block_run_length_decode_kernelIfiLj256ELj8ELj8EEvPKT_PKT0_PS0_.num_named_barrier, 0
	.set _Z30block_run_length_decode_kernelIfiLj256ELj8ELj8EEvPKT_PKT0_PS0_.private_seg_size, 0
	.set _Z30block_run_length_decode_kernelIfiLj256ELj8ELj8EEvPKT_PKT0_PS0_.uses_vcc, 1
	.set _Z30block_run_length_decode_kernelIfiLj256ELj8ELj8EEvPKT_PKT0_PS0_.uses_flat_scratch, 0
	.set _Z30block_run_length_decode_kernelIfiLj256ELj8ELj8EEvPKT_PKT0_PS0_.has_dyn_sized_stack, 0
	.set _Z30block_run_length_decode_kernelIfiLj256ELj8ELj8EEvPKT_PKT0_PS0_.has_recursion, 0
	.set _Z30block_run_length_decode_kernelIfiLj256ELj8ELj8EEvPKT_PKT0_PS0_.has_indirect_call, 0
	.section	.AMDGPU.csdata,"",@progbits
; Kernel info:
; codeLenInByte = 2492
; TotalNumSgprs: 12
; NumVgprs: 28
; ScratchSize: 0
; MemoryBound: 0
; FloatMode: 240
; IeeeMode: 1
; LDSByteSize: 16384 bytes/workgroup (compile time only)
; SGPRBlocks: 12
; VGPRBlocks: 12
; NumSGPRsForWavesPerEU: 102
; NumVGPRsForWavesPerEU: 49
; Occupancy: 4
; WaveLimiterHint : 0
; COMPUTE_PGM_RSRC2:SCRATCH_EN: 0
; COMPUTE_PGM_RSRC2:USER_SGPR: 6
; COMPUTE_PGM_RSRC2:TRAP_HANDLER: 0
; COMPUTE_PGM_RSRC2:TGID_X_EN: 1
; COMPUTE_PGM_RSRC2:TGID_Y_EN: 0
; COMPUTE_PGM_RSRC2:TGID_Z_EN: 0
; COMPUTE_PGM_RSRC2:TIDIG_COMP_CNT: 0
	.section	.text._Z30block_run_length_decode_kernelIcxLj256ELj8ELj8EEvPKT_PKT0_PS0_,"axG",@progbits,_Z30block_run_length_decode_kernelIcxLj256ELj8ELj8EEvPKT_PKT0_PS0_,comdat
	.protected	_Z30block_run_length_decode_kernelIcxLj256ELj8ELj8EEvPKT_PKT0_PS0_ ; -- Begin function _Z30block_run_length_decode_kernelIcxLj256ELj8ELj8EEvPKT_PKT0_PS0_
	.globl	_Z30block_run_length_decode_kernelIcxLj256ELj8ELj8EEvPKT_PKT0_PS0_
	.p2align	8
	.type	_Z30block_run_length_decode_kernelIcxLj256ELj8ELj8EEvPKT_PKT0_PS0_,@function
_Z30block_run_length_decode_kernelIcxLj256ELj8ELj8EEvPKT_PKT0_PS0_: ; @_Z30block_run_length_decode_kernelIcxLj256ELj8ELj8EEvPKT_PKT0_PS0_
; %bb.0:
	s_load_dwordx4 s[0:3], s[4:5], 0x0
	v_lshlrev_b32_e32 v20, 3, v0
	v_lshl_or_b32 v17, s6, 11, v20
	v_mov_b32_e32 v18, 0
	v_lshlrev_b64 v[1:2], 3, v[17:18]
	s_waitcnt lgkmcnt(0)
	v_mov_b32_e32 v3, s3
	v_add_co_u32_e32 v21, vcc, s2, v1
	v_addc_co_u32_e32 v22, vcc, v3, v2, vcc
	global_load_dwordx4 v[13:16], v[21:22], off
	global_load_dwordx4 v[9:12], v[21:22], off offset:16
	global_load_dwordx4 v[5:8], v[21:22], off offset:32
	;; [unrolled: 1-line block ×3, first 2 shown]
	global_load_dwordx2 v[18:19], v17, s[0:1]
	s_waitcnt vmcnt(1)
	v_mbcnt_lo_u32_b32 v2, -1, 0
	v_mbcnt_hi_u32_b32 v2, -1, v2
	v_and_b32_e32 v8, 15, v2
	v_cmp_ne_u32_e32 vcc, 0, v8
	v_bfe_i32 v10, v2, 4, 1
	v_or_b32_e32 v6, 63, v0
	v_lshrrev_b32_e32 v4, 6, v0
	v_add_u32_e32 v12, v15, v13
	v_add3_u32 v12, v12, v9, v11
	v_add3_u32 v12, v12, v5, v7
	;; [unrolled: 1-line block ×3, first 2 shown]
	s_nop 1
	v_mov_b32_dpp v12, v3 row_shr:1 row_mask:0xf bank_mask:0xf
	v_cndmask_b32_e32 v12, 0, v12, vcc
	v_add_u32_e32 v3, v12, v3
	v_cmp_lt_u32_e32 vcc, 1, v8
	s_nop 0
	v_mov_b32_dpp v12, v3 row_shr:2 row_mask:0xf bank_mask:0xf
	v_cndmask_b32_e32 v12, 0, v12, vcc
	v_add_u32_e32 v3, v3, v12
	v_cmp_lt_u32_e32 vcc, 3, v8
	;; [unrolled: 5-line block ×4, first 2 shown]
	s_nop 0
	v_mov_b32_dpp v8, v3 row_bcast:15 row_mask:0xf bank_mask:0xf
	v_and_b32_e32 v8, v10, v8
	v_add_u32_e32 v3, v3, v8
	s_nop 1
	v_mov_b32_dpp v8, v3 row_bcast:31 row_mask:0xf bank_mask:0xf
	v_cndmask_b32_e32 v8, 0, v8, vcc
	v_add_u32_e32 v3, v3, v8
	v_cmp_eq_u32_e32 vcc, v0, v6
	s_and_saveexec_b64 s[0:1], vcc
; %bb.1:
	v_lshlrev_b32_e32 v6, 2, v4
	ds_write_b32 v6, v3
; %bb.2:
	s_or_b64 exec, exec, s[0:1]
	v_cmp_gt_u32_e32 vcc, 4, v0
	s_waitcnt vmcnt(0) lgkmcnt(0)
	s_barrier
	s_and_saveexec_b64 s[0:1], vcc
	s_cbranch_execz .LBB15_4
; %bb.3:
	v_lshlrev_b32_e32 v6, 2, v0
	ds_read_b32 v8, v6
	v_and_b32_e32 v10, 3, v2
	v_cmp_ne_u32_e32 vcc, 0, v10
	s_waitcnt lgkmcnt(0)
	v_mov_b32_dpp v12, v8 row_shr:1 row_mask:0xf bank_mask:0xf
	v_cndmask_b32_e32 v12, 0, v12, vcc
	v_add_u32_e32 v8, v12, v8
	v_cmp_lt_u32_e32 vcc, 1, v10
	s_nop 0
	v_mov_b32_dpp v12, v8 row_shr:2 row_mask:0xf bank_mask:0xf
	v_cndmask_b32_e32 v10, 0, v12, vcc
	v_add_u32_e32 v8, v8, v10
	ds_write_b32 v6, v8
.LBB15_4:
	s_or_b64 exec, exec, s[0:1]
	v_cmp_lt_u32_e32 vcc, 63, v0
	v_mov_b32_e32 v6, 0
	v_mov_b32_e32 v8, 0
	s_waitcnt lgkmcnt(0)
	s_barrier
	s_and_saveexec_b64 s[0:1], vcc
; %bb.5:
	v_lshl_add_u32 v4, v4, 2, -4
	ds_read_b32 v8, v4
; %bb.6:
	s_or_b64 exec, exec, s[0:1]
	v_subrev_co_u32_e32 v4, vcc, 1, v2
	v_and_b32_e32 v10, 64, v2
	v_cmp_lt_i32_e64 s[0:1], v4, v10
	v_cndmask_b32_e64 v2, v4, v2, s[0:1]
	s_waitcnt lgkmcnt(0)
	v_add_u32_e32 v3, v8, v3
	v_lshlrev_b32_e32 v2, 2, v2
	ds_bpermute_b32 v2, v2, v3
	ds_read_b32 v6, v6 offset:12
	v_mad_u32_u24 v10, v0, 24, v20
	s_movk_i32 s0, 0xffe8
	s_waitcnt lgkmcnt(0)
	v_cndmask_b32_e32 v2, v2, v8, vcc
	v_cmp_ne_u32_e32 vcc, 0, v0
	v_cndmask_b32_e32 v2, 0, v2, vcc
	v_add_u32_e32 v3, v2, v13
	v_add_u32_e32 v8, v3, v15
	;; [unrolled: 1-line block ×5, first 2 shown]
	s_barrier
	ds_write_b64 v10, v[2:3] offset:2048
	ds_write_b32 v10, v8 offset:2056
	ds_write_b32 v20, v18
	ds_write_b32 v10, v9 offset:2060
	v_mad_i32_i24 v2, v0, s0, v10
	v_cmp_eq_u32_e32 vcc, 0, v6
	v_add_u32_e32 v7, v5, v7
	v_readfirstlane_b32 s6, v6
	v_mad_u32_u24 v0, v0, 24, v2
	s_and_b64 vcc, exec, vcc
	v_add_u32_e32 v1, v7, v1
	ds_write_b64 v0, v[4:5] offset:2064
	ds_write_b32 v0, v7 offset:2072
	ds_write_b32 v2, v19 offset:4
	;; [unrolled: 1-line block ×3, first 2 shown]
	s_waitcnt lgkmcnt(0)
	s_barrier
	s_cbranch_vccnz .LBB15_67
; %bb.7:
	s_load_dwordx2 s[0:1], s[4:5], 0x10
	v_or_b32_e32 v2, 1, v17
	v_or_b32_e32 v5, 2, v17
	;; [unrolled: 1-line block ×4, first 2 shown]
	s_waitcnt lgkmcnt(0)
	v_mov_b32_e32 v0, s1
	v_add_co_u32_e32 v3, vcc, s0, v17
	v_addc_co_u32_e32 v4, vcc, 0, v0, vcc
	v_mov_b32_e32 v0, 0
	ds_read_b32 v11, v0 offset:6144
	v_or_b32_e32 v8, 5, v17
	v_or_b32_e32 v9, 6, v17
	;; [unrolled: 1-line block ×3, first 2 shown]
	s_mov_b64 s[0:1], 0
	v_mov_b32_e32 v12, 0x401
	v_mov_b32_e32 v13, 0x800
	;; [unrolled: 1-line block ×5, first 2 shown]
	s_movk_i32 s7, 0x7ff
	s_mov_b32 s8, s6
	s_branch .LBB15_9
.LBB15_8:                               ;   in Loop: Header=BB15_9 Depth=1
	s_or_b64 exec, exec, s[2:3]
	s_add_u32 s0, s0, 0x800
	s_addc_u32 s1, s1, 0
	s_addk_i32 s8, 0xf800
	s_cmp_lt_u32 s0, s6
	s_cbranch_scc0 .LBB15_67
.LBB15_9:                               ; =>This Inner Loop Header: Depth=1
	v_add_co_u32_e32 v0, vcc, s0, v20
	s_waitcnt lgkmcnt(0)
	v_cmp_lt_u32_e32 vcc, v0, v11
	v_cndmask_b32_e32 v18, v15, v16, vcc
	v_lshlrev_b32_e32 v19, 2, v18
	ds_read_b32 v19, v19 offset:2048
	v_cndmask_b32_e64 v1, v12, 0, vcc
	v_cndmask_b32_e32 v21, v13, v14, vcc
	v_or_b32_e32 v22, 1, v18
	s_waitcnt lgkmcnt(0)
	v_cmp_lt_u32_e32 vcc, v0, v19
	v_cndmask_b32_e32 v1, v22, v1, vcc
	v_cndmask_b32_e32 v18, v21, v18, vcc
	v_sub_u32_e32 v19, v18, v1
	v_lshrrev_b16_e32 v21, 15, v19
	v_add_u16_e32 v19, v19, v21
	v_ashrrev_i16_e32 v19, 1, v19
	v_add_u32_sdwa v19, v1, sext(v19) dst_sel:DWORD dst_unused:UNUSED_PAD src0_sel:DWORD src1_sel:WORD_0
	v_min_i32_e32 v19, 0x7ff, v19
	v_lshlrev_b32_e32 v21, 2, v19
	ds_read_b32 v21, v21 offset:2048
	v_add_u32_e32 v22, 1, v19
	s_waitcnt lgkmcnt(0)
	v_cmp_lt_u32_e32 vcc, v0, v21
	v_cndmask_b32_e32 v1, v22, v1, vcc
	v_cndmask_b32_e32 v18, v18, v19, vcc
	v_sub_u32_e32 v19, v18, v1
	v_lshrrev_b16_e32 v21, 15, v19
	v_add_u16_e32 v19, v19, v21
	v_ashrrev_i16_e32 v19, 1, v19
	v_add_u32_sdwa v19, v1, sext(v19) dst_sel:DWORD dst_unused:UNUSED_PAD src0_sel:DWORD src1_sel:WORD_0
	v_min_i32_e32 v19, 0x7ff, v19
	v_lshlrev_b32_e32 v21, 2, v19
	ds_read_b32 v21, v21 offset:2048
	v_add_u32_e32 v22, 1, v19
	;; [unrolled: 13-line block ×8, first 2 shown]
	s_waitcnt lgkmcnt(0)
	v_cmp_lt_u32_e32 vcc, v0, v21
	v_cndmask_b32_e32 v1, v22, v1, vcc
	v_cndmask_b32_e32 v18, v18, v19, vcc
	v_sub_u32_e32 v19, v18, v1
	v_lshrrev_b32_e32 v21, 31, v19
	v_add_u32_e32 v19, v19, v21
	v_ashrrev_i32_e32 v19, 1, v19
	v_add_u32_e32 v19, v19, v1
	v_min_i32_e32 v19, 0x7ff, v19
	v_lshlrev_b32_e32 v21, 2, v19
	ds_read_b32 v21, v21 offset:2048
	v_add_u32_e32 v22, 1, v19
	s_waitcnt lgkmcnt(0)
	v_cmp_lt_u32_e32 vcc, v0, v21
	v_cndmask_b32_e32 v1, v22, v1, vcc
	v_cndmask_b32_e32 v18, v18, v19, vcc
	v_sub_u32_e32 v18, v18, v1
	v_lshrrev_b32_e32 v19, 31, v18
	v_add_u32_e32 v18, v18, v19
	v_ashrrev_i32_e32 v18, 1, v18
	v_add_u32_e32 v18, v18, v1
	v_min_i32_e32 v18, 0x7ff, v18
	v_lshlrev_b32_e32 v19, 2, v18
	ds_read_b32 v19, v19 offset:2048
	v_add_u32_e32 v18, 1, v18
	s_waitcnt lgkmcnt(0)
	v_cmp_lt_u32_e32 vcc, v0, v19
	v_cndmask_b32_e32 v21, v18, v1, vcc
	v_add_u32_e32 v1, -1, v21
	v_cmp_ne_u32_e32 vcc, s7, v1
                                        ; implicit-def: $vgpr19
	s_and_saveexec_b64 s[2:3], vcc
	s_xor_b64 s[2:3], exec, s[2:3]
; %bb.10:                               ;   in Loop: Header=BB15_9 Depth=1
	v_lshlrev_b32_e32 v18, 2, v21
	ds_read_b32 v19, v18 offset:2048
; %bb.11:                               ;   in Loop: Header=BB15_9 Depth=1
	s_andn2_saveexec_b64 s[2:3], s[2:3]
	s_cbranch_execz .LBB15_13
; %bb.12:                               ;   in Loop: Header=BB15_9 Depth=1
	s_waitcnt lgkmcnt(0)
	v_add_u32_e32 v19, 8, v0
.LBB15_13:                              ;   in Loop: Header=BB15_9 Depth=1
	s_or_b64 exec, exec, s[2:3]
	ds_read_u8 v18, v1
	s_waitcnt lgkmcnt(1)
	v_add_u32_e32 v25, -1, v19
	v_cmp_eq_u32_e32 vcc, v0, v25
	s_waitcnt lgkmcnt(0)
	v_mov_b32_e32 v19, v18
	s_and_saveexec_b64 s[2:3], vcc
	s_cbranch_execz .LBB15_19
; %bb.14:                               ;   in Loop: Header=BB15_9 Depth=1
	v_cmp_ne_u32_e32 vcc, s7, v21
                                        ; implicit-def: $vgpr1
	s_and_saveexec_b64 s[4:5], vcc
	s_xor_b64 s[4:5], exec, s[4:5]
; %bb.15:                               ;   in Loop: Header=BB15_9 Depth=1
	v_lshlrev_b32_e32 v1, 2, v21
	ds_read_b32 v1, v1 offset:2052
; %bb.16:                               ;   in Loop: Header=BB15_9 Depth=1
	s_andn2_saveexec_b64 s[4:5], s[4:5]
	s_cbranch_execz .LBB15_18
; %bb.17:                               ;   in Loop: Header=BB15_9 Depth=1
	s_waitcnt lgkmcnt(0)
	v_add_u32_e32 v1, 8, v0
.LBB15_18:                              ;   in Loop: Header=BB15_9 Depth=1
	s_or_b64 exec, exec, s[4:5]
	ds_read_u8 v19, v21
	s_waitcnt lgkmcnt(1)
	v_add_u32_e32 v25, -1, v1
	v_mov_b32_e32 v1, v21
.LBB15_19:                              ;   in Loop: Header=BB15_9 Depth=1
	s_or_b64 exec, exec, s[2:3]
	v_add_u32_e32 v21, 1, v0
	v_cmp_eq_u32_e32 vcc, v21, v25
	s_waitcnt lgkmcnt(0)
	v_mov_b32_e32 v21, v19
	s_and_saveexec_b64 s[2:3], vcc
	s_cbranch_execz .LBB15_25
; %bb.20:                               ;   in Loop: Header=BB15_9 Depth=1
	v_add_u32_e32 v22, 1, v1
	v_cmp_ne_u32_e32 vcc, s7, v22
                                        ; implicit-def: $vgpr23
	s_and_saveexec_b64 s[4:5], vcc
	s_xor_b64 s[4:5], exec, s[4:5]
; %bb.21:                               ;   in Loop: Header=BB15_9 Depth=1
	v_lshlrev_b32_e32 v21, 2, v1
	ds_read_b32 v23, v21 offset:2056
; %bb.22:                               ;   in Loop: Header=BB15_9 Depth=1
	s_andn2_saveexec_b64 s[4:5], s[4:5]
	s_cbranch_execz .LBB15_24
; %bb.23:                               ;   in Loop: Header=BB15_9 Depth=1
	s_waitcnt lgkmcnt(0)
	v_add_u32_e32 v23, 9, v0
.LBB15_24:                              ;   in Loop: Header=BB15_9 Depth=1
	s_or_b64 exec, exec, s[4:5]
	ds_read_u8 v21, v1 offset:1
	s_waitcnt lgkmcnt(1)
	v_add_u32_e32 v25, -1, v23
	v_mov_b32_e32 v1, v22
.LBB15_25:                              ;   in Loop: Header=BB15_9 Depth=1
	s_or_b64 exec, exec, s[2:3]
	v_add_u32_e32 v22, 2, v0
	v_cmp_eq_u32_e32 vcc, v22, v25
	s_waitcnt lgkmcnt(0)
	v_mov_b32_e32 v22, v21
	s_and_saveexec_b64 s[2:3], vcc
	s_cbranch_execz .LBB15_31
; %bb.26:                               ;   in Loop: Header=BB15_9 Depth=1
	v_add_u32_e32 v23, 1, v1
	v_cmp_ne_u32_e32 vcc, s7, v23
                                        ; implicit-def: $vgpr24
	s_and_saveexec_b64 s[4:5], vcc
	s_xor_b64 s[4:5], exec, s[4:5]
; %bb.27:                               ;   in Loop: Header=BB15_9 Depth=1
	v_lshlrev_b32_e32 v22, 2, v1
	ds_read_b32 v24, v22 offset:2056
; %bb.28:                               ;   in Loop: Header=BB15_9 Depth=1
	s_andn2_saveexec_b64 s[4:5], s[4:5]
	s_cbranch_execz .LBB15_30
; %bb.29:                               ;   in Loop: Header=BB15_9 Depth=1
	s_waitcnt lgkmcnt(0)
	v_add_u32_e32 v24, 10, v0
.LBB15_30:                              ;   in Loop: Header=BB15_9 Depth=1
	s_or_b64 exec, exec, s[4:5]
	ds_read_u8 v22, v1 offset:1
	s_waitcnt lgkmcnt(1)
	v_add_u32_e32 v25, -1, v24
	v_mov_b32_e32 v1, v23
.LBB15_31:                              ;   in Loop: Header=BB15_9 Depth=1
	s_or_b64 exec, exec, s[2:3]
	v_add_u32_e32 v23, 3, v0
	v_cmp_eq_u32_e32 vcc, v23, v25
	s_waitcnt lgkmcnt(0)
	v_mov_b32_e32 v23, v22
	s_and_saveexec_b64 s[2:3], vcc
	s_cbranch_execz .LBB15_37
; %bb.32:                               ;   in Loop: Header=BB15_9 Depth=1
	v_add_u32_e32 v24, 1, v1
	v_cmp_ne_u32_e32 vcc, s7, v24
                                        ; implicit-def: $vgpr25
	s_and_saveexec_b64 s[4:5], vcc
	s_xor_b64 s[4:5], exec, s[4:5]
; %bb.33:                               ;   in Loop: Header=BB15_9 Depth=1
	v_lshlrev_b32_e32 v23, 2, v1
	ds_read_b32 v25, v23 offset:2056
; %bb.34:                               ;   in Loop: Header=BB15_9 Depth=1
	s_andn2_saveexec_b64 s[4:5], s[4:5]
	s_cbranch_execz .LBB15_36
; %bb.35:                               ;   in Loop: Header=BB15_9 Depth=1
	s_waitcnt lgkmcnt(0)
	v_add_u32_e32 v25, 11, v0
.LBB15_36:                              ;   in Loop: Header=BB15_9 Depth=1
	s_or_b64 exec, exec, s[4:5]
	ds_read_u8 v23, v1 offset:1
	s_waitcnt lgkmcnt(1)
	v_add_u32_e32 v25, -1, v25
	v_mov_b32_e32 v1, v24
.LBB15_37:                              ;   in Loop: Header=BB15_9 Depth=1
	s_or_b64 exec, exec, s[2:3]
	v_add_u32_e32 v24, 4, v0
	v_cmp_eq_u32_e32 vcc, v24, v25
	s_waitcnt lgkmcnt(0)
	v_mov_b32_e32 v24, v23
	s_and_saveexec_b64 s[2:3], vcc
	s_cbranch_execz .LBB15_43
; %bb.38:                               ;   in Loop: Header=BB15_9 Depth=1
	v_add_u32_e32 v26, 1, v1
	v_cmp_ne_u32_e32 vcc, s7, v26
                                        ; implicit-def: $vgpr25
	s_and_saveexec_b64 s[4:5], vcc
	s_xor_b64 s[4:5], exec, s[4:5]
; %bb.39:                               ;   in Loop: Header=BB15_9 Depth=1
	v_lshlrev_b32_e32 v24, 2, v1
	ds_read_b32 v25, v24 offset:2056
; %bb.40:                               ;   in Loop: Header=BB15_9 Depth=1
	s_andn2_saveexec_b64 s[4:5], s[4:5]
	s_cbranch_execz .LBB15_42
; %bb.41:                               ;   in Loop: Header=BB15_9 Depth=1
	s_waitcnt lgkmcnt(0)
	v_add_u32_e32 v25, 12, v0
.LBB15_42:                              ;   in Loop: Header=BB15_9 Depth=1
	s_or_b64 exec, exec, s[4:5]
	ds_read_u8 v24, v1 offset:1
	s_waitcnt lgkmcnt(1)
	v_add_u32_e32 v25, -1, v25
	v_mov_b32_e32 v1, v26
.LBB15_43:                              ;   in Loop: Header=BB15_9 Depth=1
	s_or_b64 exec, exec, s[2:3]
	v_add_u32_e32 v26, 5, v0
	v_cmp_eq_u32_e32 vcc, v26, v25
	s_waitcnt lgkmcnt(0)
	v_mov_b32_e32 v26, v24
	s_and_saveexec_b64 s[2:3], vcc
	s_cbranch_execz .LBB15_49
; %bb.44:                               ;   in Loop: Header=BB15_9 Depth=1
	v_add_u32_e32 v27, 1, v1
	v_cmp_ne_u32_e32 vcc, s7, v27
                                        ; implicit-def: $vgpr25
	s_and_saveexec_b64 s[4:5], vcc
	s_xor_b64 s[4:5], exec, s[4:5]
; %bb.45:                               ;   in Loop: Header=BB15_9 Depth=1
	v_lshlrev_b32_e32 v25, 2, v1
	ds_read_b32 v25, v25 offset:2056
; %bb.46:                               ;   in Loop: Header=BB15_9 Depth=1
	s_andn2_saveexec_b64 s[4:5], s[4:5]
	s_cbranch_execz .LBB15_48
; %bb.47:                               ;   in Loop: Header=BB15_9 Depth=1
	s_waitcnt lgkmcnt(0)
	v_add_u32_e32 v25, 13, v0
.LBB15_48:                              ;   in Loop: Header=BB15_9 Depth=1
	s_or_b64 exec, exec, s[4:5]
	ds_read_u8 v26, v1 offset:1
	s_waitcnt lgkmcnt(1)
	v_add_u32_e32 v25, -1, v25
	v_mov_b32_e32 v1, v27
.LBB15_49:                              ;   in Loop: Header=BB15_9 Depth=1
	s_or_b64 exec, exec, s[2:3]
	v_add_u32_e32 v0, 6, v0
	v_cmp_eq_u32_e32 vcc, v0, v25
	s_waitcnt lgkmcnt(0)
	v_mov_b32_e32 v25, v26
	s_and_saveexec_b64 s[2:3], vcc
; %bb.50:                               ;   in Loop: Header=BB15_9 Depth=1
	ds_read_u8 v25, v1 offset:1
; %bb.51:                               ;   in Loop: Header=BB15_9 Depth=1
	s_or_b64 exec, exec, s[2:3]
	v_mov_b32_e32 v1, s1
	v_add_co_u32_e32 v0, vcc, s0, v3
	s_min_u32 s4, s8, 0x800
	v_addc_co_u32_e32 v1, vcc, v4, v1, vcc
	v_cmp_gt_u32_e32 vcc, s4, v17
	s_and_saveexec_b64 s[2:3], vcc
	s_cbranch_execnz .LBB15_59
; %bb.52:                               ;   in Loop: Header=BB15_9 Depth=1
	s_or_b64 exec, exec, s[2:3]
	v_cmp_gt_u32_e32 vcc, s4, v2
	s_and_saveexec_b64 s[2:3], vcc
	s_cbranch_execnz .LBB15_60
.LBB15_53:                              ;   in Loop: Header=BB15_9 Depth=1
	s_or_b64 exec, exec, s[2:3]
	v_cmp_gt_u32_e32 vcc, s4, v5
	s_and_saveexec_b64 s[2:3], vcc
	s_cbranch_execnz .LBB15_61
.LBB15_54:                              ;   in Loop: Header=BB15_9 Depth=1
	s_or_b64 exec, exec, s[2:3]
	v_cmp_gt_u32_e32 vcc, s4, v6
	s_and_saveexec_b64 s[2:3], vcc
	s_cbranch_execnz .LBB15_62
.LBB15_55:                              ;   in Loop: Header=BB15_9 Depth=1
	s_or_b64 exec, exec, s[2:3]
	v_cmp_gt_u32_e32 vcc, s4, v7
	s_and_saveexec_b64 s[2:3], vcc
	s_cbranch_execnz .LBB15_63
.LBB15_56:                              ;   in Loop: Header=BB15_9 Depth=1
	s_or_b64 exec, exec, s[2:3]
	v_cmp_gt_u32_e32 vcc, s4, v8
	s_and_saveexec_b64 s[2:3], vcc
	s_cbranch_execnz .LBB15_64
.LBB15_57:                              ;   in Loop: Header=BB15_9 Depth=1
	s_or_b64 exec, exec, s[2:3]
	v_cmp_gt_u32_e32 vcc, s4, v9
	s_and_saveexec_b64 s[2:3], vcc
	s_cbranch_execnz .LBB15_65
.LBB15_58:                              ;   in Loop: Header=BB15_9 Depth=1
	s_or_b64 exec, exec, s[2:3]
	v_cmp_gt_u32_e32 vcc, s4, v10
	s_and_saveexec_b64 s[2:3], vcc
	s_cbranch_execz .LBB15_8
	s_branch .LBB15_66
.LBB15_59:                              ;   in Loop: Header=BB15_9 Depth=1
	global_store_byte v[0:1], v18, off
	s_or_b64 exec, exec, s[2:3]
	v_cmp_gt_u32_e32 vcc, s4, v2
	s_and_saveexec_b64 s[2:3], vcc
	s_cbranch_execz .LBB15_53
.LBB15_60:                              ;   in Loop: Header=BB15_9 Depth=1
	global_store_byte v[0:1], v19, off offset:1
	s_or_b64 exec, exec, s[2:3]
	v_cmp_gt_u32_e32 vcc, s4, v5
	s_and_saveexec_b64 s[2:3], vcc
	s_cbranch_execz .LBB15_54
.LBB15_61:                              ;   in Loop: Header=BB15_9 Depth=1
	global_store_byte v[0:1], v21, off offset:2
	s_or_b64 exec, exec, s[2:3]
	v_cmp_gt_u32_e32 vcc, s4, v6
	s_and_saveexec_b64 s[2:3], vcc
	s_cbranch_execz .LBB15_55
.LBB15_62:                              ;   in Loop: Header=BB15_9 Depth=1
	global_store_byte v[0:1], v22, off offset:3
	s_or_b64 exec, exec, s[2:3]
	v_cmp_gt_u32_e32 vcc, s4, v7
	s_and_saveexec_b64 s[2:3], vcc
	s_cbranch_execz .LBB15_56
.LBB15_63:                              ;   in Loop: Header=BB15_9 Depth=1
	global_store_byte v[0:1], v23, off offset:4
	s_or_b64 exec, exec, s[2:3]
	v_cmp_gt_u32_e32 vcc, s4, v8
	s_and_saveexec_b64 s[2:3], vcc
	s_cbranch_execz .LBB15_57
.LBB15_64:                              ;   in Loop: Header=BB15_9 Depth=1
	global_store_byte v[0:1], v24, off offset:5
	s_or_b64 exec, exec, s[2:3]
	v_cmp_gt_u32_e32 vcc, s4, v9
	s_and_saveexec_b64 s[2:3], vcc
	s_cbranch_execz .LBB15_58
.LBB15_65:                              ;   in Loop: Header=BB15_9 Depth=1
	global_store_byte v[0:1], v26, off offset:6
	s_or_b64 exec, exec, s[2:3]
	v_cmp_gt_u32_e32 vcc, s4, v10
	s_and_saveexec_b64 s[2:3], vcc
	s_cbranch_execz .LBB15_8
.LBB15_66:                              ;   in Loop: Header=BB15_9 Depth=1
	s_waitcnt lgkmcnt(0)
	global_store_byte v[0:1], v25, off offset:7
	s_branch .LBB15_8
.LBB15_67:
	s_endpgm
	.section	.rodata,"a",@progbits
	.p2align	6, 0x0
	.amdhsa_kernel _Z30block_run_length_decode_kernelIcxLj256ELj8ELj8EEvPKT_PKT0_PS0_
		.amdhsa_group_segment_fixed_size 10240
		.amdhsa_private_segment_fixed_size 0
		.amdhsa_kernarg_size 24
		.amdhsa_user_sgpr_count 6
		.amdhsa_user_sgpr_private_segment_buffer 1
		.amdhsa_user_sgpr_dispatch_ptr 0
		.amdhsa_user_sgpr_queue_ptr 0
		.amdhsa_user_sgpr_kernarg_segment_ptr 1
		.amdhsa_user_sgpr_dispatch_id 0
		.amdhsa_user_sgpr_flat_scratch_init 0
		.amdhsa_user_sgpr_private_segment_size 0
		.amdhsa_uses_dynamic_stack 0
		.amdhsa_system_sgpr_private_segment_wavefront_offset 0
		.amdhsa_system_sgpr_workgroup_id_x 1
		.amdhsa_system_sgpr_workgroup_id_y 0
		.amdhsa_system_sgpr_workgroup_id_z 0
		.amdhsa_system_sgpr_workgroup_info 0
		.amdhsa_system_vgpr_workitem_id 0
		.amdhsa_next_free_vgpr 37
		.amdhsa_next_free_sgpr 93
		.amdhsa_reserve_vcc 1
		.amdhsa_reserve_flat_scratch 0
		.amdhsa_float_round_mode_32 0
		.amdhsa_float_round_mode_16_64 0
		.amdhsa_float_denorm_mode_32 3
		.amdhsa_float_denorm_mode_16_64 3
		.amdhsa_dx10_clamp 1
		.amdhsa_ieee_mode 1
		.amdhsa_fp16_overflow 0
		.amdhsa_exception_fp_ieee_invalid_op 0
		.amdhsa_exception_fp_denorm_src 0
		.amdhsa_exception_fp_ieee_div_zero 0
		.amdhsa_exception_fp_ieee_overflow 0
		.amdhsa_exception_fp_ieee_underflow 0
		.amdhsa_exception_fp_ieee_inexact 0
		.amdhsa_exception_int_div_zero 0
	.end_amdhsa_kernel
	.section	.text._Z30block_run_length_decode_kernelIcxLj256ELj8ELj8EEvPKT_PKT0_PS0_,"axG",@progbits,_Z30block_run_length_decode_kernelIcxLj256ELj8ELj8EEvPKT_PKT0_PS0_,comdat
.Lfunc_end15:
	.size	_Z30block_run_length_decode_kernelIcxLj256ELj8ELj8EEvPKT_PKT0_PS0_, .Lfunc_end15-_Z30block_run_length_decode_kernelIcxLj256ELj8ELj8EEvPKT_PKT0_PS0_
                                        ; -- End function
	.set _Z30block_run_length_decode_kernelIcxLj256ELj8ELj8EEvPKT_PKT0_PS0_.num_vgpr, 28
	.set _Z30block_run_length_decode_kernelIcxLj256ELj8ELj8EEvPKT_PKT0_PS0_.num_agpr, 0
	.set _Z30block_run_length_decode_kernelIcxLj256ELj8ELj8EEvPKT_PKT0_PS0_.numbered_sgpr, 9
	.set _Z30block_run_length_decode_kernelIcxLj256ELj8ELj8EEvPKT_PKT0_PS0_.num_named_barrier, 0
	.set _Z30block_run_length_decode_kernelIcxLj256ELj8ELj8EEvPKT_PKT0_PS0_.private_seg_size, 0
	.set _Z30block_run_length_decode_kernelIcxLj256ELj8ELj8EEvPKT_PKT0_PS0_.uses_vcc, 1
	.set _Z30block_run_length_decode_kernelIcxLj256ELj8ELj8EEvPKT_PKT0_PS0_.uses_flat_scratch, 0
	.set _Z30block_run_length_decode_kernelIcxLj256ELj8ELj8EEvPKT_PKT0_PS0_.has_dyn_sized_stack, 0
	.set _Z30block_run_length_decode_kernelIcxLj256ELj8ELj8EEvPKT_PKT0_PS0_.has_recursion, 0
	.set _Z30block_run_length_decode_kernelIcxLj256ELj8ELj8EEvPKT_PKT0_PS0_.has_indirect_call, 0
	.section	.AMDGPU.csdata,"",@progbits
; Kernel info:
; codeLenInByte = 2512
; TotalNumSgprs: 13
; NumVgprs: 28
; ScratchSize: 0
; MemoryBound: 0
; FloatMode: 240
; IeeeMode: 1
; LDSByteSize: 10240 bytes/workgroup (compile time only)
; SGPRBlocks: 12
; VGPRBlocks: 9
; NumSGPRsForWavesPerEU: 97
; NumVGPRsForWavesPerEU: 37
; Occupancy: 6
; WaveLimiterHint : 0
; COMPUTE_PGM_RSRC2:SCRATCH_EN: 0
; COMPUTE_PGM_RSRC2:USER_SGPR: 6
; COMPUTE_PGM_RSRC2:TRAP_HANDLER: 0
; COMPUTE_PGM_RSRC2:TGID_X_EN: 1
; COMPUTE_PGM_RSRC2:TGID_Y_EN: 0
; COMPUTE_PGM_RSRC2:TGID_Z_EN: 0
; COMPUTE_PGM_RSRC2:TIDIG_COMP_CNT: 0
	.section	.text._Z30block_run_length_decode_kernelIdcLj256ELj8ELj8EEvPKT_PKT0_PS0_,"axG",@progbits,_Z30block_run_length_decode_kernelIdcLj256ELj8ELj8EEvPKT_PKT0_PS0_,comdat
	.protected	_Z30block_run_length_decode_kernelIdcLj256ELj8ELj8EEvPKT_PKT0_PS0_ ; -- Begin function _Z30block_run_length_decode_kernelIdcLj256ELj8ELj8EEvPKT_PKT0_PS0_
	.globl	_Z30block_run_length_decode_kernelIdcLj256ELj8ELj8EEvPKT_PKT0_PS0_
	.p2align	8
	.type	_Z30block_run_length_decode_kernelIdcLj256ELj8ELj8EEvPKT_PKT0_PS0_,@function
_Z30block_run_length_decode_kernelIdcLj256ELj8ELj8EEvPKT_PKT0_PS0_: ; @_Z30block_run_length_decode_kernelIdcLj256ELj8ELj8EEvPKT_PKT0_PS0_
; %bb.0:
	s_load_dwordx4 s[0:3], s[4:5], 0x0
	v_lshlrev_b32_e32 v22, 3, v0
	v_lshl_or_b32 v17, s6, 11, v22
	v_mov_b32_e32 v18, 0
	v_lshlrev_b64 v[18:19], 3, v[17:18]
	s_waitcnt lgkmcnt(0)
	global_load_dwordx2 v[20:21], v17, s[2:3]
	v_mov_b32_e32 v1, s1
	v_add_co_u32_e32 v23, vcc, s0, v18
	v_addc_co_u32_e32 v24, vcc, v1, v19, vcc
	global_load_dwordx4 v[1:4], v[23:24], off offset:48
	global_load_dwordx4 v[5:8], v[23:24], off offset:32
	;; [unrolled: 1-line block ×3, first 2 shown]
	global_load_dwordx4 v[13:16], v[23:24], off
	v_mbcnt_lo_u32_b32 v23, -1, 0
	v_mbcnt_hi_u32_b32 v23, -1, v23
	v_and_b32_e32 v31, 15, v23
	v_cmp_ne_u32_e32 vcc, 0, v31
	v_bfe_i32 v32, v23, 4, 1
	v_or_b32_e32 v30, 63, v0
	v_lshrrev_b32_e32 v29, 6, v0
	s_waitcnt vmcnt(4)
	v_bfe_i32 v28, v20, 16, 8
	v_ashrrev_i32_e32 v24, 24, v20
	v_add_u32_sdwa v33, sext(v20), sext(v20) dst_sel:DWORD dst_unused:UNUSED_PAD src0_sel:BYTE_1 src1_sel:BYTE_0
	v_bfe_i32 v25, v21, 0, 8
	v_bfe_i32 v26, v21, 8, 8
	v_add3_u32 v33, v33, v28, v24
	v_bfe_i32 v27, v21, 16, 8
	v_ashrrev_i32_e32 v21, 24, v21
	v_add3_u32 v33, v33, v25, v26
	v_add3_u32 v21, v33, v27, v21
	s_nop 1
	v_mov_b32_dpp v33, v21 row_shr:1 row_mask:0xf bank_mask:0xf
	v_cndmask_b32_e32 v33, 0, v33, vcc
	v_add_u32_e32 v21, v33, v21
	v_cmp_lt_u32_e32 vcc, 1, v31
	s_nop 0
	v_mov_b32_dpp v33, v21 row_shr:2 row_mask:0xf bank_mask:0xf
	v_cndmask_b32_e32 v33, 0, v33, vcc
	v_add_u32_e32 v21, v21, v33
	v_cmp_lt_u32_e32 vcc, 3, v31
	;; [unrolled: 5-line block ×4, first 2 shown]
	s_nop 0
	v_mov_b32_dpp v31, v21 row_bcast:15 row_mask:0xf bank_mask:0xf
	v_and_b32_e32 v31, v32, v31
	v_add_u32_e32 v21, v21, v31
	s_nop 1
	v_mov_b32_dpp v31, v21 row_bcast:31 row_mask:0xf bank_mask:0xf
	v_cndmask_b32_e32 v31, 0, v31, vcc
	v_add_u32_e32 v21, v21, v31
	v_cmp_eq_u32_e32 vcc, v0, v30
	s_and_saveexec_b64 s[0:1], vcc
; %bb.1:
	v_lshlrev_b32_e32 v30, 2, v29
	ds_write_b32 v30, v21
; %bb.2:
	s_or_b64 exec, exec, s[0:1]
	v_cmp_gt_u32_e32 vcc, 4, v0
	s_waitcnt vmcnt(0) lgkmcnt(0)
	s_barrier
	s_and_saveexec_b64 s[0:1], vcc
	s_cbranch_execz .LBB16_4
; %bb.3:
	v_lshlrev_b32_e32 v30, 2, v0
	ds_read_b32 v31, v30
	v_and_b32_e32 v32, 3, v23
	v_cmp_ne_u32_e32 vcc, 0, v32
	s_waitcnt lgkmcnt(0)
	v_mov_b32_dpp v33, v31 row_shr:1 row_mask:0xf bank_mask:0xf
	v_cndmask_b32_e32 v33, 0, v33, vcc
	v_add_u32_e32 v31, v33, v31
	v_cmp_lt_u32_e32 vcc, 1, v32
	s_nop 0
	v_mov_b32_dpp v33, v31 row_shr:2 row_mask:0xf bank_mask:0xf
	v_cndmask_b32_e32 v32, 0, v33, vcc
	v_add_u32_e32 v31, v31, v32
	ds_write_b32 v30, v31
.LBB16_4:
	s_or_b64 exec, exec, s[0:1]
	v_cmp_lt_u32_e32 vcc, 63, v0
	v_mov_b32_e32 v30, 0
	v_mov_b32_e32 v31, 0
	s_waitcnt lgkmcnt(0)
	s_barrier
	s_and_saveexec_b64 s[0:1], vcc
; %bb.5:
	v_lshl_add_u32 v29, v29, 2, -4
	ds_read_b32 v31, v29
; %bb.6:
	s_or_b64 exec, exec, s[0:1]
	v_subrev_co_u32_e32 v29, vcc, 1, v23
	v_and_b32_e32 v32, 64, v23
	v_cmp_lt_i32_e64 s[0:1], v29, v32
	v_cndmask_b32_e64 v23, v29, v23, s[0:1]
	s_waitcnt lgkmcnt(0)
	v_add_u32_e32 v21, v31, v21
	v_lshlrev_b32_e32 v23, 2, v23
	ds_bpermute_b32 v21, v23, v21
	ds_read_b32 v29, v30 offset:12
	v_lshlrev_b32_e32 v30, 3, v22
	s_mov_b32 s6, 0
	s_waitcnt lgkmcnt(0)
	v_cndmask_b32_e32 v21, v21, v31, vcc
	v_cmp_ne_u32_e32 vcc, 0, v0
	v_cndmask_b32_e32 v21, 0, v21, vcc
	v_add_u32_sdwa v23, v21, sext(v20) dst_sel:DWORD dst_unused:UNUSED_PAD src0_sel:DWORD src1_sel:BYTE_0
	v_add_u32_sdwa v20, v23, sext(v20) dst_sel:DWORD dst_unused:UNUSED_PAD src0_sel:DWORD src1_sel:BYTE_1
	v_add_u32_e32 v28, v20, v28
	v_add_u32_e32 v24, v28, v24
	;; [unrolled: 1-line block ×3, first 2 shown]
	v_lshlrev_b32_e32 v0, 5, v0
	v_cmp_eq_u32_e32 vcc, 0, v29
	v_add_u32_e32 v26, v25, v26
	v_readfirstlane_b32 s7, v29
	v_sub_u32_e32 v0, v30, v0
	s_and_b64 vcc, exec, vcc
	v_add_u32_e32 v27, v26, v27
	s_barrier
	ds_write_b64 v30, v[13:14]
	ds_write_b32 v0, v21 offset:16384
	v_add_u32_e32 v13, 0x4004, v0
	ds_write2_b64 v30, v[15:16], v[9:10] offset0:1 offset1:2
	ds_write2_b32 v13, v23, v20 offset1:1
	v_add_u32_e32 v9, 0x400c, v0
	ds_write2_b64 v30, v[11:12], v[5:6] offset0:3 offset1:4
	ds_write2_b32 v9, v28, v24 offset1:1
	ds_write_b64 v30, v[7:8] offset:40
	ds_write_b32 v0, v25 offset:16404
	ds_write_b64 v30, v[1:2] offset:48
	ds_write_b32 v0, v26 offset:16408
	;; [unrolled: 2-line block ×3, first 2 shown]
	s_waitcnt lgkmcnt(0)
	s_barrier
	s_cbranch_vccnz .LBB16_67
; %bb.7:
	s_load_dwordx2 s[0:1], s[4:5], 0x10
	v_mov_b32_e32 v0, 0
	ds_read_b32 v16, v0 offset:20480
	v_or_b32_e32 v20, 1, v17
	v_or_b32_e32 v21, 2, v17
	s_waitcnt lgkmcnt(0)
	v_mov_b32_e32 v0, s1
	v_add_co_u32_e32 v1, vcc, s0, v18
	v_addc_co_u32_e32 v2, vcc, v0, v19, vcc
	v_add_co_u32_e32 v0, vcc, 56, v1
	v_or_b32_e32 v23, 3, v17
	v_or_b32_e32 v24, 4, v17
	;; [unrolled: 1-line block ×5, first 2 shown]
	v_addc_co_u32_e32 v1, vcc, 0, v2, vcc
	v_mov_b32_e32 v28, 0x401
	v_mov_b32_e32 v29, 0x800
	;; [unrolled: 1-line block ×5, first 2 shown]
	s_movk_i32 s4, 0x7ff
	s_mov_b32 s5, s7
	s_branch .LBB16_9
.LBB16_8:                               ;   in Loop: Header=BB16_9 Depth=1
	s_or_b64 exec, exec, s[0:1]
	s_addk_i32 s6, 0x800
	s_addk_i32 s5, 0xf800
	v_add_co_u32_e32 v0, vcc, 0x4000, v0
	s_cmp_lt_u32 s6, s7
	v_addc_co_u32_e32 v1, vcc, 0, v1, vcc
	s_cbranch_scc0 .LBB16_67
.LBB16_9:                               ; =>This Inner Loop Header: Depth=1
	s_waitcnt lgkmcnt(0)
	v_add_u32_e32 v18, s6, v22
	v_cmp_lt_u32_e32 vcc, v18, v16
	v_cndmask_b32_e32 v3, v31, v32, vcc
	v_lshlrev_b32_e32 v4, 2, v3
	ds_read_b32 v4, v4 offset:16384
	v_cndmask_b32_e64 v2, v28, 0, vcc
	v_cndmask_b32_e32 v5, v29, v30, vcc
	v_or_b32_e32 v6, 1, v3
	s_waitcnt lgkmcnt(0)
	v_cmp_lt_u32_e32 vcc, v18, v4
	v_cndmask_b32_e32 v2, v6, v2, vcc
	v_cndmask_b32_e32 v3, v5, v3, vcc
	v_sub_u32_e32 v4, v3, v2
	v_lshrrev_b16_e32 v5, 15, v4
	v_add_u16_e32 v4, v4, v5
	v_ashrrev_i16_e32 v4, 1, v4
	v_add_u32_sdwa v4, v2, sext(v4) dst_sel:DWORD dst_unused:UNUSED_PAD src0_sel:DWORD src1_sel:WORD_0
	v_min_i32_e32 v4, 0x7ff, v4
	v_lshlrev_b32_e32 v5, 2, v4
	ds_read_b32 v5, v5 offset:16384
	v_add_u32_e32 v6, 1, v4
	s_waitcnt lgkmcnt(0)
	v_cmp_lt_u32_e32 vcc, v18, v5
	v_cndmask_b32_e32 v2, v6, v2, vcc
	v_cndmask_b32_e32 v3, v3, v4, vcc
	v_sub_u32_e32 v4, v3, v2
	v_lshrrev_b16_e32 v5, 15, v4
	v_add_u16_e32 v4, v4, v5
	v_ashrrev_i16_e32 v4, 1, v4
	v_add_u32_sdwa v4, v2, sext(v4) dst_sel:DWORD dst_unused:UNUSED_PAD src0_sel:DWORD src1_sel:WORD_0
	v_min_i32_e32 v4, 0x7ff, v4
	v_lshlrev_b32_e32 v5, 2, v4
	ds_read_b32 v5, v5 offset:16384
	v_add_u32_e32 v6, 1, v4
	;; [unrolled: 13-line block ×8, first 2 shown]
	s_waitcnt lgkmcnt(0)
	v_cmp_lt_u32_e32 vcc, v18, v5
	v_cndmask_b32_e32 v2, v6, v2, vcc
	v_cndmask_b32_e32 v3, v3, v4, vcc
	v_sub_u32_e32 v4, v3, v2
	v_lshrrev_b32_e32 v5, 31, v4
	v_add_u32_e32 v4, v4, v5
	v_ashrrev_i32_e32 v4, 1, v4
	v_add_u32_e32 v4, v4, v2
	v_min_i32_e32 v4, 0x7ff, v4
	v_lshlrev_b32_e32 v5, 2, v4
	ds_read_b32 v5, v5 offset:16384
	v_add_u32_e32 v6, 1, v4
	s_waitcnt lgkmcnt(0)
	v_cmp_lt_u32_e32 vcc, v18, v5
	v_cndmask_b32_e32 v2, v6, v2, vcc
	v_cndmask_b32_e32 v3, v3, v4, vcc
	v_sub_u32_e32 v3, v3, v2
	v_lshrrev_b32_e32 v4, 31, v3
	v_add_u32_e32 v3, v3, v4
	v_ashrrev_i32_e32 v3, 1, v3
	v_add_u32_e32 v3, v3, v2
	v_min_i32_e32 v3, 0x7ff, v3
	v_lshlrev_b32_e32 v4, 2, v3
	ds_read_b32 v4, v4 offset:16384
	v_add_u32_e32 v3, 1, v3
	s_waitcnt lgkmcnt(0)
	v_cmp_lt_u32_e32 vcc, v18, v4
	v_cndmask_b32_e32 v6, v3, v2, vcc
	v_add_u32_e32 v33, -1, v6
	v_cmp_ne_u32_e32 vcc, s4, v33
                                        ; implicit-def: $vgpr4
	s_and_saveexec_b64 s[0:1], vcc
	s_xor_b64 s[0:1], exec, s[0:1]
; %bb.10:                               ;   in Loop: Header=BB16_9 Depth=1
	v_lshlrev_b32_e32 v2, 2, v6
	ds_read_b32 v4, v2 offset:16384
; %bb.11:                               ;   in Loop: Header=BB16_9 Depth=1
	s_andn2_saveexec_b64 s[0:1], s[0:1]
	s_cbranch_execz .LBB16_13
; %bb.12:                               ;   in Loop: Header=BB16_9 Depth=1
	s_waitcnt lgkmcnt(0)
	v_add_u32_e32 v4, 8, v18
.LBB16_13:                              ;   in Loop: Header=BB16_9 Depth=1
	s_or_b64 exec, exec, s[0:1]
	v_lshlrev_b32_e32 v2, 3, v33
	ds_read_b64 v[2:3], v2
	s_waitcnt lgkmcnt(1)
	v_add_u32_e32 v19, -1, v4
	v_cmp_eq_u32_e32 vcc, v18, v19
	s_waitcnt lgkmcnt(0)
	v_mov_b32_e32 v5, v3
	v_mov_b32_e32 v4, v2
	s_and_saveexec_b64 s[0:1], vcc
	s_cbranch_execz .LBB16_19
; %bb.14:                               ;   in Loop: Header=BB16_9 Depth=1
	v_cmp_ne_u32_e32 vcc, s4, v6
                                        ; implicit-def: $vgpr7
	s_and_saveexec_b64 s[2:3], vcc
	s_xor_b64 s[2:3], exec, s[2:3]
; %bb.15:                               ;   in Loop: Header=BB16_9 Depth=1
	v_lshlrev_b32_e32 v4, 2, v6
	ds_read_b32 v7, v4 offset:16388
; %bb.16:                               ;   in Loop: Header=BB16_9 Depth=1
	s_andn2_saveexec_b64 s[2:3], s[2:3]
	s_cbranch_execz .LBB16_18
; %bb.17:                               ;   in Loop: Header=BB16_9 Depth=1
	s_waitcnt lgkmcnt(0)
	v_add_u32_e32 v7, 8, v18
.LBB16_18:                              ;   in Loop: Header=BB16_9 Depth=1
	s_or_b64 exec, exec, s[2:3]
	v_lshlrev_b32_e32 v4, 3, v6
	ds_read_b64 v[4:5], v4
	s_waitcnt lgkmcnt(1)
	v_add_u32_e32 v19, -1, v7
	v_mov_b32_e32 v33, v6
.LBB16_19:                              ;   in Loop: Header=BB16_9 Depth=1
	s_or_b64 exec, exec, s[0:1]
	v_add_u32_e32 v6, 1, v18
	v_cmp_eq_u32_e32 vcc, v6, v19
	s_waitcnt lgkmcnt(0)
	v_mov_b32_e32 v7, v5
	v_mov_b32_e32 v6, v4
	s_and_saveexec_b64 s[0:1], vcc
	s_cbranch_execz .LBB16_25
; %bb.20:                               ;   in Loop: Header=BB16_9 Depth=1
	v_add_u32_e32 v8, 1, v33
	v_cmp_ne_u32_e32 vcc, s4, v8
                                        ; implicit-def: $vgpr9
	s_and_saveexec_b64 s[2:3], vcc
	s_xor_b64 s[2:3], exec, s[2:3]
; %bb.21:                               ;   in Loop: Header=BB16_9 Depth=1
	v_lshlrev_b32_e32 v6, 2, v33
	ds_read_b32 v9, v6 offset:16392
; %bb.22:                               ;   in Loop: Header=BB16_9 Depth=1
	s_andn2_saveexec_b64 s[2:3], s[2:3]
	s_cbranch_execz .LBB16_24
; %bb.23:                               ;   in Loop: Header=BB16_9 Depth=1
	s_waitcnt lgkmcnt(0)
	v_add_u32_e32 v9, 9, v18
.LBB16_24:                              ;   in Loop: Header=BB16_9 Depth=1
	s_or_b64 exec, exec, s[2:3]
	v_lshlrev_b32_e32 v6, 3, v33
	ds_read_b64 v[6:7], v6 offset:8
	s_waitcnt lgkmcnt(1)
	v_add_u32_e32 v19, -1, v9
	v_mov_b32_e32 v33, v8
.LBB16_25:                              ;   in Loop: Header=BB16_9 Depth=1
	s_or_b64 exec, exec, s[0:1]
	v_add_u32_e32 v8, 2, v18
	v_cmp_eq_u32_e32 vcc, v8, v19
	s_waitcnt lgkmcnt(0)
	v_mov_b32_e32 v9, v7
	v_mov_b32_e32 v8, v6
	s_and_saveexec_b64 s[0:1], vcc
	s_cbranch_execz .LBB16_31
; %bb.26:                               ;   in Loop: Header=BB16_9 Depth=1
	v_add_u32_e32 v10, 1, v33
	v_cmp_ne_u32_e32 vcc, s4, v10
                                        ; implicit-def: $vgpr11
	s_and_saveexec_b64 s[2:3], vcc
	s_xor_b64 s[2:3], exec, s[2:3]
; %bb.27:                               ;   in Loop: Header=BB16_9 Depth=1
	v_lshlrev_b32_e32 v8, 2, v33
	ds_read_b32 v11, v8 offset:16392
; %bb.28:                               ;   in Loop: Header=BB16_9 Depth=1
	s_andn2_saveexec_b64 s[2:3], s[2:3]
	s_cbranch_execz .LBB16_30
; %bb.29:                               ;   in Loop: Header=BB16_9 Depth=1
	s_waitcnt lgkmcnt(0)
	v_add_u32_e32 v11, 10, v18
.LBB16_30:                              ;   in Loop: Header=BB16_9 Depth=1
	s_or_b64 exec, exec, s[2:3]
	v_lshlrev_b32_e32 v8, 3, v33
	ds_read_b64 v[8:9], v8 offset:8
	s_waitcnt lgkmcnt(1)
	v_add_u32_e32 v19, -1, v11
	v_mov_b32_e32 v33, v10
.LBB16_31:                              ;   in Loop: Header=BB16_9 Depth=1
	s_or_b64 exec, exec, s[0:1]
	v_add_u32_e32 v10, 3, v18
	v_cmp_eq_u32_e32 vcc, v10, v19
	s_waitcnt lgkmcnt(0)
	v_mov_b32_e32 v11, v9
	v_mov_b32_e32 v10, v8
	s_and_saveexec_b64 s[0:1], vcc
	s_cbranch_execz .LBB16_37
; %bb.32:                               ;   in Loop: Header=BB16_9 Depth=1
	v_add_u32_e32 v12, 1, v33
	v_cmp_ne_u32_e32 vcc, s4, v12
                                        ; implicit-def: $vgpr13
	s_and_saveexec_b64 s[2:3], vcc
	s_xor_b64 s[2:3], exec, s[2:3]
; %bb.33:                               ;   in Loop: Header=BB16_9 Depth=1
	v_lshlrev_b32_e32 v10, 2, v33
	ds_read_b32 v13, v10 offset:16392
; %bb.34:                               ;   in Loop: Header=BB16_9 Depth=1
	s_andn2_saveexec_b64 s[2:3], s[2:3]
	s_cbranch_execz .LBB16_36
; %bb.35:                               ;   in Loop: Header=BB16_9 Depth=1
	s_waitcnt lgkmcnt(0)
	v_add_u32_e32 v13, 11, v18
.LBB16_36:                              ;   in Loop: Header=BB16_9 Depth=1
	s_or_b64 exec, exec, s[2:3]
	v_lshlrev_b32_e32 v10, 3, v33
	ds_read_b64 v[10:11], v10 offset:8
	s_waitcnt lgkmcnt(1)
	v_add_u32_e32 v19, -1, v13
	v_mov_b32_e32 v33, v12
.LBB16_37:                              ;   in Loop: Header=BB16_9 Depth=1
	s_or_b64 exec, exec, s[0:1]
	v_add_u32_e32 v12, 4, v18
	v_cmp_eq_u32_e32 vcc, v12, v19
	s_waitcnt lgkmcnt(0)
	v_mov_b32_e32 v13, v11
	v_mov_b32_e32 v12, v10
	s_and_saveexec_b64 s[0:1], vcc
	s_cbranch_execz .LBB16_43
; %bb.38:                               ;   in Loop: Header=BB16_9 Depth=1
	v_add_u32_e32 v14, 1, v33
	v_cmp_ne_u32_e32 vcc, s4, v14
                                        ; implicit-def: $vgpr15
	s_and_saveexec_b64 s[2:3], vcc
	s_xor_b64 s[2:3], exec, s[2:3]
; %bb.39:                               ;   in Loop: Header=BB16_9 Depth=1
	v_lshlrev_b32_e32 v12, 2, v33
	ds_read_b32 v15, v12 offset:16392
; %bb.40:                               ;   in Loop: Header=BB16_9 Depth=1
	s_andn2_saveexec_b64 s[2:3], s[2:3]
	s_cbranch_execz .LBB16_42
; %bb.41:                               ;   in Loop: Header=BB16_9 Depth=1
	s_waitcnt lgkmcnt(0)
	v_add_u32_e32 v15, 12, v18
.LBB16_42:                              ;   in Loop: Header=BB16_9 Depth=1
	s_or_b64 exec, exec, s[2:3]
	v_lshlrev_b32_e32 v12, 3, v33
	ds_read_b64 v[12:13], v12 offset:8
	s_waitcnt lgkmcnt(1)
	v_add_u32_e32 v19, -1, v15
	v_mov_b32_e32 v33, v14
.LBB16_43:                              ;   in Loop: Header=BB16_9 Depth=1
	s_or_b64 exec, exec, s[0:1]
	v_add_u32_e32 v14, 5, v18
	v_cmp_eq_u32_e32 vcc, v14, v19
	s_waitcnt lgkmcnt(0)
	v_mov_b32_e32 v15, v13
	v_mov_b32_e32 v14, v12
	s_and_saveexec_b64 s[0:1], vcc
	s_cbranch_execz .LBB16_49
; %bb.44:                               ;   in Loop: Header=BB16_9 Depth=1
	v_add_u32_e32 v34, 1, v33
	v_cmp_ne_u32_e32 vcc, s4, v34
                                        ; implicit-def: $vgpr19
	s_and_saveexec_b64 s[2:3], vcc
	s_xor_b64 s[2:3], exec, s[2:3]
; %bb.45:                               ;   in Loop: Header=BB16_9 Depth=1
	v_lshlrev_b32_e32 v14, 2, v33
	ds_read_b32 v19, v14 offset:16392
; %bb.46:                               ;   in Loop: Header=BB16_9 Depth=1
	s_andn2_saveexec_b64 s[2:3], s[2:3]
	s_cbranch_execz .LBB16_48
; %bb.47:                               ;   in Loop: Header=BB16_9 Depth=1
	s_waitcnt lgkmcnt(0)
	v_add_u32_e32 v19, 13, v18
.LBB16_48:                              ;   in Loop: Header=BB16_9 Depth=1
	s_or_b64 exec, exec, s[2:3]
	v_lshlrev_b32_e32 v14, 3, v33
	ds_read_b64 v[14:15], v14 offset:8
	s_waitcnt lgkmcnt(1)
	v_add_u32_e32 v19, -1, v19
	v_mov_b32_e32 v33, v34
.LBB16_49:                              ;   in Loop: Header=BB16_9 Depth=1
	s_or_b64 exec, exec, s[0:1]
	v_add_u32_e32 v18, 6, v18
	v_cmp_eq_u32_e32 vcc, v18, v19
	s_waitcnt lgkmcnt(0)
	v_mov_b32_e32 v19, v15
	v_mov_b32_e32 v18, v14
	s_and_saveexec_b64 s[0:1], vcc
; %bb.50:                               ;   in Loop: Header=BB16_9 Depth=1
	v_lshlrev_b32_e32 v18, 3, v33
	ds_read_b64 v[18:19], v18 offset:8
; %bb.51:                               ;   in Loop: Header=BB16_9 Depth=1
	s_or_b64 exec, exec, s[0:1]
	s_min_u32 s2, s5, 0x800
	v_cmp_gt_u32_e32 vcc, s2, v17
	s_and_saveexec_b64 s[0:1], vcc
	s_cbranch_execnz .LBB16_59
; %bb.52:                               ;   in Loop: Header=BB16_9 Depth=1
	s_or_b64 exec, exec, s[0:1]
	v_cmp_gt_u32_e32 vcc, s2, v20
	s_and_saveexec_b64 s[0:1], vcc
	s_cbranch_execnz .LBB16_60
.LBB16_53:                              ;   in Loop: Header=BB16_9 Depth=1
	s_or_b64 exec, exec, s[0:1]
	v_cmp_gt_u32_e32 vcc, s2, v21
	s_and_saveexec_b64 s[0:1], vcc
	s_cbranch_execnz .LBB16_61
.LBB16_54:                              ;   in Loop: Header=BB16_9 Depth=1
	s_or_b64 exec, exec, s[0:1]
	v_cmp_gt_u32_e32 vcc, s2, v23
	s_and_saveexec_b64 s[0:1], vcc
	s_cbranch_execnz .LBB16_62
.LBB16_55:                              ;   in Loop: Header=BB16_9 Depth=1
	s_or_b64 exec, exec, s[0:1]
	v_cmp_gt_u32_e32 vcc, s2, v24
	s_and_saveexec_b64 s[0:1], vcc
	s_cbranch_execnz .LBB16_63
.LBB16_56:                              ;   in Loop: Header=BB16_9 Depth=1
	s_or_b64 exec, exec, s[0:1]
	v_cmp_gt_u32_e32 vcc, s2, v25
	s_and_saveexec_b64 s[0:1], vcc
	s_cbranch_execnz .LBB16_64
.LBB16_57:                              ;   in Loop: Header=BB16_9 Depth=1
	s_or_b64 exec, exec, s[0:1]
	v_cmp_gt_u32_e32 vcc, s2, v26
	s_and_saveexec_b64 s[0:1], vcc
	s_cbranch_execnz .LBB16_65
.LBB16_58:                              ;   in Loop: Header=BB16_9 Depth=1
	s_or_b64 exec, exec, s[0:1]
	v_cmp_gt_u32_e32 vcc, s2, v27
	s_and_saveexec_b64 s[0:1], vcc
	s_cbranch_execz .LBB16_8
	s_branch .LBB16_66
.LBB16_59:                              ;   in Loop: Header=BB16_9 Depth=1
	global_store_dwordx2 v[0:1], v[2:3], off offset:-56
	s_or_b64 exec, exec, s[0:1]
	v_cmp_gt_u32_e32 vcc, s2, v20
	s_and_saveexec_b64 s[0:1], vcc
	s_cbranch_execz .LBB16_53
.LBB16_60:                              ;   in Loop: Header=BB16_9 Depth=1
	global_store_dwordx2 v[0:1], v[4:5], off offset:-48
	s_or_b64 exec, exec, s[0:1]
	v_cmp_gt_u32_e32 vcc, s2, v21
	s_and_saveexec_b64 s[0:1], vcc
	s_cbranch_execz .LBB16_54
.LBB16_61:                              ;   in Loop: Header=BB16_9 Depth=1
	global_store_dwordx2 v[0:1], v[6:7], off offset:-40
	s_or_b64 exec, exec, s[0:1]
	v_cmp_gt_u32_e32 vcc, s2, v23
	s_and_saveexec_b64 s[0:1], vcc
	s_cbranch_execz .LBB16_55
.LBB16_62:                              ;   in Loop: Header=BB16_9 Depth=1
	global_store_dwordx2 v[0:1], v[8:9], off offset:-32
	s_or_b64 exec, exec, s[0:1]
	v_cmp_gt_u32_e32 vcc, s2, v24
	s_and_saveexec_b64 s[0:1], vcc
	s_cbranch_execz .LBB16_56
.LBB16_63:                              ;   in Loop: Header=BB16_9 Depth=1
	global_store_dwordx2 v[0:1], v[10:11], off offset:-24
	s_or_b64 exec, exec, s[0:1]
	v_cmp_gt_u32_e32 vcc, s2, v25
	s_and_saveexec_b64 s[0:1], vcc
	s_cbranch_execz .LBB16_57
.LBB16_64:                              ;   in Loop: Header=BB16_9 Depth=1
	global_store_dwordx2 v[0:1], v[12:13], off offset:-16
	s_or_b64 exec, exec, s[0:1]
	v_cmp_gt_u32_e32 vcc, s2, v26
	s_and_saveexec_b64 s[0:1], vcc
	s_cbranch_execz .LBB16_58
.LBB16_65:                              ;   in Loop: Header=BB16_9 Depth=1
	global_store_dwordx2 v[0:1], v[14:15], off offset:-8
	s_or_b64 exec, exec, s[0:1]
	v_cmp_gt_u32_e32 vcc, s2, v27
	s_and_saveexec_b64 s[0:1], vcc
	s_cbranch_execz .LBB16_8
.LBB16_66:                              ;   in Loop: Header=BB16_9 Depth=1
	s_waitcnt lgkmcnt(0)
	global_store_dwordx2 v[0:1], v[18:19], off
	s_branch .LBB16_8
.LBB16_67:
	s_endpgm
	.section	.rodata,"a",@progbits
	.p2align	6, 0x0
	.amdhsa_kernel _Z30block_run_length_decode_kernelIdcLj256ELj8ELj8EEvPKT_PKT0_PS0_
		.amdhsa_group_segment_fixed_size 24576
		.amdhsa_private_segment_fixed_size 0
		.amdhsa_kernarg_size 24
		.amdhsa_user_sgpr_count 6
		.amdhsa_user_sgpr_private_segment_buffer 1
		.amdhsa_user_sgpr_dispatch_ptr 0
		.amdhsa_user_sgpr_queue_ptr 0
		.amdhsa_user_sgpr_kernarg_segment_ptr 1
		.amdhsa_user_sgpr_dispatch_id 0
		.amdhsa_user_sgpr_flat_scratch_init 0
		.amdhsa_user_sgpr_private_segment_size 0
		.amdhsa_uses_dynamic_stack 0
		.amdhsa_system_sgpr_private_segment_wavefront_offset 0
		.amdhsa_system_sgpr_workgroup_id_x 1
		.amdhsa_system_sgpr_workgroup_id_y 0
		.amdhsa_system_sgpr_workgroup_id_z 0
		.amdhsa_system_sgpr_workgroup_info 0
		.amdhsa_system_vgpr_workitem_id 0
		.amdhsa_next_free_vgpr 85
		.amdhsa_next_free_sgpr 98
		.amdhsa_reserve_vcc 1
		.amdhsa_reserve_flat_scratch 0
		.amdhsa_float_round_mode_32 0
		.amdhsa_float_round_mode_16_64 0
		.amdhsa_float_denorm_mode_32 3
		.amdhsa_float_denorm_mode_16_64 3
		.amdhsa_dx10_clamp 1
		.amdhsa_ieee_mode 1
		.amdhsa_fp16_overflow 0
		.amdhsa_exception_fp_ieee_invalid_op 0
		.amdhsa_exception_fp_denorm_src 0
		.amdhsa_exception_fp_ieee_div_zero 0
		.amdhsa_exception_fp_ieee_overflow 0
		.amdhsa_exception_fp_ieee_underflow 0
		.amdhsa_exception_fp_ieee_inexact 0
		.amdhsa_exception_int_div_zero 0
	.end_amdhsa_kernel
	.section	.text._Z30block_run_length_decode_kernelIdcLj256ELj8ELj8EEvPKT_PKT0_PS0_,"axG",@progbits,_Z30block_run_length_decode_kernelIdcLj256ELj8ELj8EEvPKT_PKT0_PS0_,comdat
.Lfunc_end16:
	.size	_Z30block_run_length_decode_kernelIdcLj256ELj8ELj8EEvPKT_PKT0_PS0_, .Lfunc_end16-_Z30block_run_length_decode_kernelIdcLj256ELj8ELj8EEvPKT_PKT0_PS0_
                                        ; -- End function
	.set _Z30block_run_length_decode_kernelIdcLj256ELj8ELj8EEvPKT_PKT0_PS0_.num_vgpr, 35
	.set _Z30block_run_length_decode_kernelIdcLj256ELj8ELj8EEvPKT_PKT0_PS0_.num_agpr, 0
	.set _Z30block_run_length_decode_kernelIdcLj256ELj8ELj8EEvPKT_PKT0_PS0_.numbered_sgpr, 8
	.set _Z30block_run_length_decode_kernelIdcLj256ELj8ELj8EEvPKT_PKT0_PS0_.num_named_barrier, 0
	.set _Z30block_run_length_decode_kernelIdcLj256ELj8ELj8EEvPKT_PKT0_PS0_.private_seg_size, 0
	.set _Z30block_run_length_decode_kernelIdcLj256ELj8ELj8EEvPKT_PKT0_PS0_.uses_vcc, 1
	.set _Z30block_run_length_decode_kernelIdcLj256ELj8ELj8EEvPKT_PKT0_PS0_.uses_flat_scratch, 0
	.set _Z30block_run_length_decode_kernelIdcLj256ELj8ELj8EEvPKT_PKT0_PS0_.has_dyn_sized_stack, 0
	.set _Z30block_run_length_decode_kernelIdcLj256ELj8ELj8EEvPKT_PKT0_PS0_.has_recursion, 0
	.set _Z30block_run_length_decode_kernelIdcLj256ELj8ELj8EEvPKT_PKT0_PS0_.has_indirect_call, 0
	.section	.AMDGPU.csdata,"",@progbits
; Kernel info:
; codeLenInByte = 2656
; TotalNumSgprs: 12
; NumVgprs: 35
; ScratchSize: 0
; MemoryBound: 0
; FloatMode: 240
; IeeeMode: 1
; LDSByteSize: 24576 bytes/workgroup (compile time only)
; SGPRBlocks: 12
; VGPRBlocks: 21
; NumSGPRsForWavesPerEU: 102
; NumVGPRsForWavesPerEU: 85
; Occupancy: 2
; WaveLimiterHint : 0
; COMPUTE_PGM_RSRC2:SCRATCH_EN: 0
; COMPUTE_PGM_RSRC2:USER_SGPR: 6
; COMPUTE_PGM_RSRC2:TRAP_HANDLER: 0
; COMPUTE_PGM_RSRC2:TGID_X_EN: 1
; COMPUTE_PGM_RSRC2:TGID_Y_EN: 0
; COMPUTE_PGM_RSRC2:TGID_Z_EN: 0
; COMPUTE_PGM_RSRC2:TIDIG_COMP_CNT: 0
	.section	.text._Z30block_run_length_decode_kernelIiiLj256ELj8ELj8EEvPKT_PKT0_PS0_,"axG",@progbits,_Z30block_run_length_decode_kernelIiiLj256ELj8ELj8EEvPKT_PKT0_PS0_,comdat
	.protected	_Z30block_run_length_decode_kernelIiiLj256ELj8ELj8EEvPKT_PKT0_PS0_ ; -- Begin function _Z30block_run_length_decode_kernelIiiLj256ELj8ELj8EEvPKT_PKT0_PS0_
	.globl	_Z30block_run_length_decode_kernelIiiLj256ELj8ELj8EEvPKT_PKT0_PS0_
	.p2align	8
	.type	_Z30block_run_length_decode_kernelIiiLj256ELj8ELj8EEvPKT_PKT0_PS0_,@function
_Z30block_run_length_decode_kernelIiiLj256ELj8ELj8EEvPKT_PKT0_PS0_: ; @_Z30block_run_length_decode_kernelIiiLj256ELj8ELj8EEvPKT_PKT0_PS0_
; %bb.0:
	s_load_dwordx4 s[0:3], s[4:5], 0x0
	v_lshlrev_b32_e32 v20, 3, v0
	v_lshl_or_b32 v17, s6, 11, v20
	v_mov_b32_e32 v18, 0
	v_lshlrev_b64 v[18:19], 2, v[17:18]
	s_waitcnt lgkmcnt(0)
	v_mov_b32_e32 v2, s3
	v_add_co_u32_e32 v1, vcc, s2, v18
	v_addc_co_u32_e32 v2, vcc, v2, v19, vcc
	global_load_dwordx4 v[13:16], v[1:2], off
	global_load_dwordx4 v[9:12], v[1:2], off offset:16
	v_mov_b32_e32 v1, s1
	v_add_co_u32_e32 v21, vcc, s0, v18
	v_addc_co_u32_e32 v22, vcc, v1, v19, vcc
	global_load_dwordx4 v[1:4], v[21:22], off offset:16
	global_load_dwordx4 v[5:8], v[21:22], off
	v_mbcnt_lo_u32_b32 v21, -1, 0
	v_mbcnt_hi_u32_b32 v21, -1, v21
	v_and_b32_e32 v24, 15, v21
	v_cmp_ne_u32_e32 vcc, 0, v24
	v_bfe_i32 v25, v21, 4, 1
	v_or_b32_e32 v23, 63, v0
	v_lshrrev_b32_e32 v22, 6, v0
	s_waitcnt vmcnt(3)
	v_add_u32_e32 v26, v14, v13
	v_add3_u32 v26, v26, v15, v16
	s_waitcnt vmcnt(2)
	v_add3_u32 v26, v26, v9, v10
	v_add3_u32 v12, v26, v11, v12
	s_nop 1
	v_mov_b32_dpp v26, v12 row_shr:1 row_mask:0xf bank_mask:0xf
	v_cndmask_b32_e32 v26, 0, v26, vcc
	v_add_u32_e32 v12, v26, v12
	v_cmp_lt_u32_e32 vcc, 1, v24
	s_nop 0
	v_mov_b32_dpp v26, v12 row_shr:2 row_mask:0xf bank_mask:0xf
	v_cndmask_b32_e32 v26, 0, v26, vcc
	v_add_u32_e32 v12, v12, v26
	v_cmp_lt_u32_e32 vcc, 3, v24
	;; [unrolled: 5-line block ×4, first 2 shown]
	s_nop 0
	v_mov_b32_dpp v24, v12 row_bcast:15 row_mask:0xf bank_mask:0xf
	v_and_b32_e32 v24, v25, v24
	v_add_u32_e32 v12, v12, v24
	s_nop 1
	v_mov_b32_dpp v24, v12 row_bcast:31 row_mask:0xf bank_mask:0xf
	v_cndmask_b32_e32 v24, 0, v24, vcc
	v_add_u32_e32 v12, v12, v24
	v_cmp_eq_u32_e32 vcc, v0, v23
	s_and_saveexec_b64 s[0:1], vcc
; %bb.1:
	v_lshlrev_b32_e32 v23, 2, v22
	ds_write_b32 v23, v12
; %bb.2:
	s_or_b64 exec, exec, s[0:1]
	v_cmp_gt_u32_e32 vcc, 4, v0
	s_waitcnt vmcnt(0) lgkmcnt(0)
	s_barrier
	s_and_saveexec_b64 s[0:1], vcc
	s_cbranch_execz .LBB17_4
; %bb.3:
	v_lshlrev_b32_e32 v23, 2, v0
	ds_read_b32 v24, v23
	v_and_b32_e32 v25, 3, v21
	v_cmp_ne_u32_e32 vcc, 0, v25
	s_waitcnt lgkmcnt(0)
	v_mov_b32_dpp v26, v24 row_shr:1 row_mask:0xf bank_mask:0xf
	v_cndmask_b32_e32 v26, 0, v26, vcc
	v_add_u32_e32 v24, v26, v24
	v_cmp_lt_u32_e32 vcc, 1, v25
	s_nop 0
	v_mov_b32_dpp v26, v24 row_shr:2 row_mask:0xf bank_mask:0xf
	v_cndmask_b32_e32 v25, 0, v26, vcc
	v_add_u32_e32 v24, v24, v25
	ds_write_b32 v23, v24
.LBB17_4:
	s_or_b64 exec, exec, s[0:1]
	v_cmp_lt_u32_e32 vcc, 63, v0
	v_mov_b32_e32 v23, 0
	v_mov_b32_e32 v24, 0
	s_waitcnt lgkmcnt(0)
	s_barrier
	s_and_saveexec_b64 s[0:1], vcc
; %bb.5:
	v_lshl_add_u32 v22, v22, 2, -4
	ds_read_b32 v24, v22
; %bb.6:
	s_or_b64 exec, exec, s[0:1]
	v_subrev_co_u32_e32 v22, vcc, 1, v21
	v_and_b32_e32 v25, 64, v21
	v_cmp_lt_i32_e64 s[0:1], v22, v25
	v_cndmask_b32_e64 v21, v22, v21, s[0:1]
	s_waitcnt lgkmcnt(0)
	v_add_u32_e32 v12, v24, v12
	v_lshlrev_b32_e32 v21, 2, v21
	ds_bpermute_b32 v12, v21, v12
	s_mov_b32 s6, 0
	s_waitcnt lgkmcnt(0)
	v_cndmask_b32_e32 v12, v12, v24, vcc
	v_cmp_ne_u32_e32 vcc, 0, v0
	v_cndmask_b32_e32 v12, 0, v12, vcc
	v_add_u32_e32 v13, v12, v13
	ds_read_b32 v0, v23 offset:12
	v_add_u32_e32 v14, v13, v14
	v_add_u32_e32 v15, v14, v15
	;; [unrolled: 1-line block ×5, first 2 shown]
	s_waitcnt lgkmcnt(0)
	v_cmp_eq_u32_e32 vcc, 0, v0
	v_add_u32_e32 v10, v9, v11
	v_readfirstlane_b32 s7, v0
	v_lshlrev_b32_e32 v11, 2, v20
	s_and_b64 vcc, exec, vcc
	s_barrier
	v_or_b32_e32 v16, 0x2000, v11
	ds_write2_b64 v11, v[5:6], v[7:8] offset1:1
	ds_write2_b64 v16, v[12:13], v[14:15] offset1:1
	v_add_u32_e32 v5, 0x2010, v11
	ds_write2_b64 v11, v[1:2], v[3:4] offset0:2 offset1:3
	ds_write2_b64 v5, v[21:22], v[9:10] offset1:1
	s_waitcnt lgkmcnt(0)
	s_barrier
	s_cbranch_vccnz .LBB17_67
; %bb.7:
	s_load_dwordx2 s[0:1], s[4:5], 0x10
	v_mov_b32_e32 v0, 0
	ds_read_b32 v9, v0 offset:12288
	v_or_b32_e32 v2, 1, v17
	v_or_b32_e32 v3, 2, v17
	s_waitcnt lgkmcnt(0)
	v_mov_b32_e32 v0, s1
	v_add_co_u32_e32 v1, vcc, s0, v18
	v_addc_co_u32_e32 v10, vcc, v0, v19, vcc
	v_add_co_u32_e32 v0, vcc, 28, v1
	v_or_b32_e32 v4, 3, v17
	v_or_b32_e32 v5, 4, v17
	;; [unrolled: 1-line block ×5, first 2 shown]
	v_addc_co_u32_e32 v1, vcc, 0, v10, vcc
	v_mov_b32_e32 v10, 0x401
	v_mov_b32_e32 v11, 0x800
	;; [unrolled: 1-line block ×5, first 2 shown]
	s_movk_i32 s4, 0x7ff
	s_mov_b32 s5, s7
	s_branch .LBB17_9
.LBB17_8:                               ;   in Loop: Header=BB17_9 Depth=1
	s_or_b64 exec, exec, s[0:1]
	s_addk_i32 s6, 0x800
	s_addk_i32 s5, 0xf800
	v_add_co_u32_e32 v0, vcc, 0x2000, v0
	s_cmp_lt_u32 s6, s7
	v_addc_co_u32_e32 v1, vcc, 0, v1, vcc
	s_cbranch_scc0 .LBB17_67
.LBB17_9:                               ; =>This Inner Loop Header: Depth=1
	s_waitcnt lgkmcnt(0)
	v_add_u32_e32 v15, s6, v20
	v_cmp_lt_u32_e32 vcc, v15, v9
	v_cndmask_b32_e32 v18, v13, v14, vcc
	v_lshlrev_b32_e32 v19, 2, v18
	ds_read_b32 v19, v19 offset:8192
	v_cndmask_b32_e64 v16, v10, 0, vcc
	v_cndmask_b32_e32 v21, v11, v12, vcc
	v_or_b32_e32 v22, 1, v18
	s_waitcnt lgkmcnt(0)
	v_cmp_lt_u32_e32 vcc, v15, v19
	v_cndmask_b32_e32 v16, v22, v16, vcc
	v_cndmask_b32_e32 v18, v21, v18, vcc
	v_sub_u32_e32 v19, v18, v16
	v_lshrrev_b16_e32 v21, 15, v19
	v_add_u16_e32 v19, v19, v21
	v_ashrrev_i16_e32 v19, 1, v19
	v_add_u32_sdwa v19, v16, sext(v19) dst_sel:DWORD dst_unused:UNUSED_PAD src0_sel:DWORD src1_sel:WORD_0
	v_min_i32_e32 v19, 0x7ff, v19
	v_lshlrev_b32_e32 v21, 2, v19
	ds_read_b32 v21, v21 offset:8192
	v_add_u32_e32 v22, 1, v19
	s_waitcnt lgkmcnt(0)
	v_cmp_lt_u32_e32 vcc, v15, v21
	v_cndmask_b32_e32 v16, v22, v16, vcc
	v_cndmask_b32_e32 v18, v18, v19, vcc
	v_sub_u32_e32 v19, v18, v16
	v_lshrrev_b16_e32 v21, 15, v19
	v_add_u16_e32 v19, v19, v21
	v_ashrrev_i16_e32 v19, 1, v19
	v_add_u32_sdwa v19, v16, sext(v19) dst_sel:DWORD dst_unused:UNUSED_PAD src0_sel:DWORD src1_sel:WORD_0
	v_min_i32_e32 v19, 0x7ff, v19
	v_lshlrev_b32_e32 v21, 2, v19
	ds_read_b32 v21, v21 offset:8192
	v_add_u32_e32 v22, 1, v19
	;; [unrolled: 13-line block ×8, first 2 shown]
	s_waitcnt lgkmcnt(0)
	v_cmp_lt_u32_e32 vcc, v15, v21
	v_cndmask_b32_e32 v16, v22, v16, vcc
	v_cndmask_b32_e32 v18, v18, v19, vcc
	v_sub_u32_e32 v19, v18, v16
	v_lshrrev_b32_e32 v21, 31, v19
	v_add_u32_e32 v19, v19, v21
	v_ashrrev_i32_e32 v19, 1, v19
	v_add_u32_e32 v19, v19, v16
	v_min_i32_e32 v19, 0x7ff, v19
	v_lshlrev_b32_e32 v21, 2, v19
	ds_read_b32 v21, v21 offset:8192
	v_add_u32_e32 v22, 1, v19
	s_waitcnt lgkmcnt(0)
	v_cmp_lt_u32_e32 vcc, v15, v21
	v_cndmask_b32_e32 v16, v22, v16, vcc
	v_cndmask_b32_e32 v18, v18, v19, vcc
	v_sub_u32_e32 v18, v18, v16
	v_lshrrev_b32_e32 v19, 31, v18
	v_add_u32_e32 v18, v18, v19
	v_ashrrev_i32_e32 v18, 1, v18
	v_add_u32_e32 v18, v18, v16
	v_min_i32_e32 v18, 0x7ff, v18
	v_lshlrev_b32_e32 v19, 2, v18
	ds_read_b32 v19, v19 offset:8192
	v_add_u32_e32 v18, 1, v18
	s_waitcnt lgkmcnt(0)
	v_cmp_lt_u32_e32 vcc, v15, v19
	v_cndmask_b32_e32 v19, v18, v16, vcc
	v_add_u32_e32 v23, -1, v19
	v_cmp_ne_u32_e32 vcc, s4, v23
                                        ; implicit-def: $vgpr18
	s_and_saveexec_b64 s[0:1], vcc
	s_xor_b64 s[0:1], exec, s[0:1]
; %bb.10:                               ;   in Loop: Header=BB17_9 Depth=1
	v_lshlrev_b32_e32 v16, 2, v19
	ds_read_b32 v18, v16 offset:8192
; %bb.11:                               ;   in Loop: Header=BB17_9 Depth=1
	s_andn2_saveexec_b64 s[0:1], s[0:1]
	s_cbranch_execz .LBB17_13
; %bb.12:                               ;   in Loop: Header=BB17_9 Depth=1
	s_waitcnt lgkmcnt(0)
	v_add_u32_e32 v18, 8, v15
.LBB17_13:                              ;   in Loop: Header=BB17_9 Depth=1
	s_or_b64 exec, exec, s[0:1]
	v_lshlrev_b32_e32 v16, 2, v23
	ds_read_b32 v16, v16
	s_waitcnt lgkmcnt(1)
	v_add_u32_e32 v25, -1, v18
	v_cmp_eq_u32_e32 vcc, v15, v25
	s_waitcnt lgkmcnt(0)
	v_mov_b32_e32 v18, v16
	s_and_saveexec_b64 s[0:1], vcc
	s_cbranch_execz .LBB17_19
; %bb.14:                               ;   in Loop: Header=BB17_9 Depth=1
	v_cmp_ne_u32_e32 vcc, s4, v19
	v_lshlrev_b32_e32 v18, 2, v19
                                        ; implicit-def: $vgpr21
	s_and_saveexec_b64 s[2:3], vcc
	s_xor_b64 s[2:3], exec, s[2:3]
; %bb.15:                               ;   in Loop: Header=BB17_9 Depth=1
	ds_read_b32 v21, v18 offset:8196
; %bb.16:                               ;   in Loop: Header=BB17_9 Depth=1
	s_andn2_saveexec_b64 s[2:3], s[2:3]
	s_cbranch_execz .LBB17_18
; %bb.17:                               ;   in Loop: Header=BB17_9 Depth=1
	s_waitcnt lgkmcnt(0)
	v_add_u32_e32 v21, 8, v15
.LBB17_18:                              ;   in Loop: Header=BB17_9 Depth=1
	s_or_b64 exec, exec, s[2:3]
	ds_read_b32 v18, v18
	s_waitcnt lgkmcnt(1)
	v_add_u32_e32 v25, -1, v21
	v_mov_b32_e32 v23, v19
.LBB17_19:                              ;   in Loop: Header=BB17_9 Depth=1
	s_or_b64 exec, exec, s[0:1]
	v_add_u32_e32 v19, 1, v15
	v_cmp_eq_u32_e32 vcc, v19, v25
	s_waitcnt lgkmcnt(0)
	v_mov_b32_e32 v19, v18
	s_and_saveexec_b64 s[0:1], vcc
	s_cbranch_execz .LBB17_25
; %bb.20:                               ;   in Loop: Header=BB17_9 Depth=1
	v_add_u32_e32 v21, 1, v23
	v_cmp_ne_u32_e32 vcc, s4, v21
	v_lshlrev_b32_e32 v19, 2, v23
                                        ; implicit-def: $vgpr22
	s_and_saveexec_b64 s[2:3], vcc
	s_xor_b64 s[2:3], exec, s[2:3]
; %bb.21:                               ;   in Loop: Header=BB17_9 Depth=1
	ds_read_b32 v22, v19 offset:8200
; %bb.22:                               ;   in Loop: Header=BB17_9 Depth=1
	s_andn2_saveexec_b64 s[2:3], s[2:3]
	s_cbranch_execz .LBB17_24
; %bb.23:                               ;   in Loop: Header=BB17_9 Depth=1
	s_waitcnt lgkmcnt(0)
	v_add_u32_e32 v22, 9, v15
.LBB17_24:                              ;   in Loop: Header=BB17_9 Depth=1
	s_or_b64 exec, exec, s[2:3]
	ds_read_b32 v19, v19 offset:4
	s_waitcnt lgkmcnt(1)
	v_add_u32_e32 v25, -1, v22
	v_mov_b32_e32 v23, v21
.LBB17_25:                              ;   in Loop: Header=BB17_9 Depth=1
	s_or_b64 exec, exec, s[0:1]
	v_add_u32_e32 v21, 2, v15
	v_cmp_eq_u32_e32 vcc, v21, v25
	s_waitcnt lgkmcnt(0)
	v_mov_b32_e32 v21, v19
	s_and_saveexec_b64 s[0:1], vcc
	s_cbranch_execz .LBB17_31
; %bb.26:                               ;   in Loop: Header=BB17_9 Depth=1
	v_add_u32_e32 v22, 1, v23
	v_cmp_ne_u32_e32 vcc, s4, v22
	v_lshlrev_b32_e32 v21, 2, v23
                                        ; implicit-def: $vgpr23
	s_and_saveexec_b64 s[2:3], vcc
	s_xor_b64 s[2:3], exec, s[2:3]
; %bb.27:                               ;   in Loop: Header=BB17_9 Depth=1
	ds_read_b32 v23, v21 offset:8200
; %bb.28:                               ;   in Loop: Header=BB17_9 Depth=1
	s_andn2_saveexec_b64 s[2:3], s[2:3]
	s_cbranch_execz .LBB17_30
; %bb.29:                               ;   in Loop: Header=BB17_9 Depth=1
	s_waitcnt lgkmcnt(0)
	v_add_u32_e32 v23, 10, v15
.LBB17_30:                              ;   in Loop: Header=BB17_9 Depth=1
	s_or_b64 exec, exec, s[2:3]
	ds_read_b32 v21, v21 offset:4
	s_waitcnt lgkmcnt(1)
	v_add_u32_e32 v25, -1, v23
	v_mov_b32_e32 v23, v22
.LBB17_31:                              ;   in Loop: Header=BB17_9 Depth=1
	s_or_b64 exec, exec, s[0:1]
	v_add_u32_e32 v22, 3, v15
	v_cmp_eq_u32_e32 vcc, v22, v25
	s_waitcnt lgkmcnt(0)
	v_mov_b32_e32 v22, v21
	s_and_saveexec_b64 s[0:1], vcc
	s_cbranch_execz .LBB17_37
; %bb.32:                               ;   in Loop: Header=BB17_9 Depth=1
	v_add_u32_e32 v24, 1, v23
	v_cmp_ne_u32_e32 vcc, s4, v24
	v_lshlrev_b32_e32 v22, 2, v23
                                        ; implicit-def: $vgpr23
	s_and_saveexec_b64 s[2:3], vcc
	s_xor_b64 s[2:3], exec, s[2:3]
; %bb.33:                               ;   in Loop: Header=BB17_9 Depth=1
	ds_read_b32 v23, v22 offset:8200
; %bb.34:                               ;   in Loop: Header=BB17_9 Depth=1
	s_andn2_saveexec_b64 s[2:3], s[2:3]
	s_cbranch_execz .LBB17_36
; %bb.35:                               ;   in Loop: Header=BB17_9 Depth=1
	s_waitcnt lgkmcnt(0)
	v_add_u32_e32 v23, 11, v15
.LBB17_36:                              ;   in Loop: Header=BB17_9 Depth=1
	s_or_b64 exec, exec, s[2:3]
	ds_read_b32 v22, v22 offset:4
	s_waitcnt lgkmcnt(1)
	v_add_u32_e32 v25, -1, v23
	v_mov_b32_e32 v23, v24
.LBB17_37:                              ;   in Loop: Header=BB17_9 Depth=1
	s_or_b64 exec, exec, s[0:1]
	v_add_u32_e32 v24, 4, v15
	v_cmp_eq_u32_e32 vcc, v24, v25
	s_waitcnt lgkmcnt(0)
	v_mov_b32_e32 v24, v22
	s_and_saveexec_b64 s[0:1], vcc
	s_cbranch_execz .LBB17_43
; %bb.38:                               ;   in Loop: Header=BB17_9 Depth=1
	v_add_u32_e32 v26, 1, v23
	v_cmp_ne_u32_e32 vcc, s4, v26
	v_lshlrev_b32_e32 v23, 2, v23
                                        ; implicit-def: $vgpr25
	s_and_saveexec_b64 s[2:3], vcc
	s_xor_b64 s[2:3], exec, s[2:3]
; %bb.39:                               ;   in Loop: Header=BB17_9 Depth=1
	ds_read_b32 v25, v23 offset:8200
; %bb.40:                               ;   in Loop: Header=BB17_9 Depth=1
	s_andn2_saveexec_b64 s[2:3], s[2:3]
	s_cbranch_execz .LBB17_42
; %bb.41:                               ;   in Loop: Header=BB17_9 Depth=1
	s_waitcnt lgkmcnt(0)
	v_add_u32_e32 v25, 12, v15
.LBB17_42:                              ;   in Loop: Header=BB17_9 Depth=1
	s_or_b64 exec, exec, s[2:3]
	ds_read_b32 v24, v23 offset:4
	s_waitcnt lgkmcnt(1)
	v_add_u32_e32 v25, -1, v25
	v_mov_b32_e32 v23, v26
.LBB17_43:                              ;   in Loop: Header=BB17_9 Depth=1
	s_or_b64 exec, exec, s[0:1]
	v_add_u32_e32 v26, 5, v15
	v_cmp_eq_u32_e32 vcc, v26, v25
	s_waitcnt lgkmcnt(0)
	v_mov_b32_e32 v26, v24
	s_and_saveexec_b64 s[0:1], vcc
	s_cbranch_execz .LBB17_49
; %bb.44:                               ;   in Loop: Header=BB17_9 Depth=1
	v_add_u32_e32 v27, 1, v23
	v_cmp_ne_u32_e32 vcc, s4, v27
	v_lshlrev_b32_e32 v23, 2, v23
                                        ; implicit-def: $vgpr25
	s_and_saveexec_b64 s[2:3], vcc
	s_xor_b64 s[2:3], exec, s[2:3]
; %bb.45:                               ;   in Loop: Header=BB17_9 Depth=1
	ds_read_b32 v25, v23 offset:8200
; %bb.46:                               ;   in Loop: Header=BB17_9 Depth=1
	s_andn2_saveexec_b64 s[2:3], s[2:3]
	s_cbranch_execz .LBB17_48
; %bb.47:                               ;   in Loop: Header=BB17_9 Depth=1
	s_waitcnt lgkmcnt(0)
	v_add_u32_e32 v25, 13, v15
.LBB17_48:                              ;   in Loop: Header=BB17_9 Depth=1
	s_or_b64 exec, exec, s[2:3]
	ds_read_b32 v26, v23 offset:4
	s_waitcnt lgkmcnt(1)
	v_add_u32_e32 v25, -1, v25
	v_mov_b32_e32 v23, v27
.LBB17_49:                              ;   in Loop: Header=BB17_9 Depth=1
	s_or_b64 exec, exec, s[0:1]
	v_add_u32_e32 v15, 6, v15
	v_cmp_eq_u32_e32 vcc, v15, v25
	s_waitcnt lgkmcnt(0)
	v_mov_b32_e32 v15, v26
	s_and_saveexec_b64 s[0:1], vcc
; %bb.50:                               ;   in Loop: Header=BB17_9 Depth=1
	v_lshlrev_b32_e32 v15, 2, v23
	ds_read_b32 v15, v15 offset:4
; %bb.51:                               ;   in Loop: Header=BB17_9 Depth=1
	s_or_b64 exec, exec, s[0:1]
	s_min_u32 s2, s5, 0x800
	v_cmp_gt_u32_e32 vcc, s2, v17
	s_and_saveexec_b64 s[0:1], vcc
	s_cbranch_execnz .LBB17_59
; %bb.52:                               ;   in Loop: Header=BB17_9 Depth=1
	s_or_b64 exec, exec, s[0:1]
	v_cmp_gt_u32_e32 vcc, s2, v2
	s_and_saveexec_b64 s[0:1], vcc
	s_cbranch_execnz .LBB17_60
.LBB17_53:                              ;   in Loop: Header=BB17_9 Depth=1
	s_or_b64 exec, exec, s[0:1]
	v_cmp_gt_u32_e32 vcc, s2, v3
	s_and_saveexec_b64 s[0:1], vcc
	s_cbranch_execnz .LBB17_61
.LBB17_54:                              ;   in Loop: Header=BB17_9 Depth=1
	s_or_b64 exec, exec, s[0:1]
	v_cmp_gt_u32_e32 vcc, s2, v4
	s_and_saveexec_b64 s[0:1], vcc
	s_cbranch_execnz .LBB17_62
.LBB17_55:                              ;   in Loop: Header=BB17_9 Depth=1
	s_or_b64 exec, exec, s[0:1]
	v_cmp_gt_u32_e32 vcc, s2, v5
	s_and_saveexec_b64 s[0:1], vcc
	s_cbranch_execnz .LBB17_63
.LBB17_56:                              ;   in Loop: Header=BB17_9 Depth=1
	s_or_b64 exec, exec, s[0:1]
	v_cmp_gt_u32_e32 vcc, s2, v6
	s_and_saveexec_b64 s[0:1], vcc
	s_cbranch_execnz .LBB17_64
.LBB17_57:                              ;   in Loop: Header=BB17_9 Depth=1
	s_or_b64 exec, exec, s[0:1]
	v_cmp_gt_u32_e32 vcc, s2, v7
	s_and_saveexec_b64 s[0:1], vcc
	s_cbranch_execnz .LBB17_65
.LBB17_58:                              ;   in Loop: Header=BB17_9 Depth=1
	s_or_b64 exec, exec, s[0:1]
	v_cmp_gt_u32_e32 vcc, s2, v8
	s_and_saveexec_b64 s[0:1], vcc
	s_cbranch_execz .LBB17_8
	s_branch .LBB17_66
.LBB17_59:                              ;   in Loop: Header=BB17_9 Depth=1
	global_store_dword v[0:1], v16, off offset:-28
	s_or_b64 exec, exec, s[0:1]
	v_cmp_gt_u32_e32 vcc, s2, v2
	s_and_saveexec_b64 s[0:1], vcc
	s_cbranch_execz .LBB17_53
.LBB17_60:                              ;   in Loop: Header=BB17_9 Depth=1
	global_store_dword v[0:1], v18, off offset:-24
	s_or_b64 exec, exec, s[0:1]
	v_cmp_gt_u32_e32 vcc, s2, v3
	s_and_saveexec_b64 s[0:1], vcc
	s_cbranch_execz .LBB17_54
.LBB17_61:                              ;   in Loop: Header=BB17_9 Depth=1
	global_store_dword v[0:1], v19, off offset:-20
	s_or_b64 exec, exec, s[0:1]
	v_cmp_gt_u32_e32 vcc, s2, v4
	s_and_saveexec_b64 s[0:1], vcc
	s_cbranch_execz .LBB17_55
.LBB17_62:                              ;   in Loop: Header=BB17_9 Depth=1
	global_store_dword v[0:1], v21, off offset:-16
	s_or_b64 exec, exec, s[0:1]
	v_cmp_gt_u32_e32 vcc, s2, v5
	s_and_saveexec_b64 s[0:1], vcc
	s_cbranch_execz .LBB17_56
.LBB17_63:                              ;   in Loop: Header=BB17_9 Depth=1
	global_store_dword v[0:1], v22, off offset:-12
	s_or_b64 exec, exec, s[0:1]
	v_cmp_gt_u32_e32 vcc, s2, v6
	s_and_saveexec_b64 s[0:1], vcc
	s_cbranch_execz .LBB17_57
.LBB17_64:                              ;   in Loop: Header=BB17_9 Depth=1
	global_store_dword v[0:1], v24, off offset:-8
	s_or_b64 exec, exec, s[0:1]
	v_cmp_gt_u32_e32 vcc, s2, v7
	s_and_saveexec_b64 s[0:1], vcc
	s_cbranch_execz .LBB17_58
.LBB17_65:                              ;   in Loop: Header=BB17_9 Depth=1
	global_store_dword v[0:1], v26, off offset:-4
	s_or_b64 exec, exec, s[0:1]
	v_cmp_gt_u32_e32 vcc, s2, v8
	s_and_saveexec_b64 s[0:1], vcc
	s_cbranch_execz .LBB17_8
.LBB17_66:                              ;   in Loop: Header=BB17_9 Depth=1
	s_waitcnt lgkmcnt(0)
	global_store_dword v[0:1], v15, off
	s_branch .LBB17_8
.LBB17_67:
	s_endpgm
	.section	.rodata,"a",@progbits
	.p2align	6, 0x0
	.amdhsa_kernel _Z30block_run_length_decode_kernelIiiLj256ELj8ELj8EEvPKT_PKT0_PS0_
		.amdhsa_group_segment_fixed_size 16384
		.amdhsa_private_segment_fixed_size 0
		.amdhsa_kernarg_size 24
		.amdhsa_user_sgpr_count 6
		.amdhsa_user_sgpr_private_segment_buffer 1
		.amdhsa_user_sgpr_dispatch_ptr 0
		.amdhsa_user_sgpr_queue_ptr 0
		.amdhsa_user_sgpr_kernarg_segment_ptr 1
		.amdhsa_user_sgpr_dispatch_id 0
		.amdhsa_user_sgpr_flat_scratch_init 0
		.amdhsa_user_sgpr_private_segment_size 0
		.amdhsa_uses_dynamic_stack 0
		.amdhsa_system_sgpr_private_segment_wavefront_offset 0
		.amdhsa_system_sgpr_workgroup_id_x 1
		.amdhsa_system_sgpr_workgroup_id_y 0
		.amdhsa_system_sgpr_workgroup_id_z 0
		.amdhsa_system_sgpr_workgroup_info 0
		.amdhsa_system_vgpr_workitem_id 0
		.amdhsa_next_free_vgpr 49
		.amdhsa_next_free_sgpr 98
		.amdhsa_reserve_vcc 1
		.amdhsa_reserve_flat_scratch 0
		.amdhsa_float_round_mode_32 0
		.amdhsa_float_round_mode_16_64 0
		.amdhsa_float_denorm_mode_32 3
		.amdhsa_float_denorm_mode_16_64 3
		.amdhsa_dx10_clamp 1
		.amdhsa_ieee_mode 1
		.amdhsa_fp16_overflow 0
		.amdhsa_exception_fp_ieee_invalid_op 0
		.amdhsa_exception_fp_denorm_src 0
		.amdhsa_exception_fp_ieee_div_zero 0
		.amdhsa_exception_fp_ieee_overflow 0
		.amdhsa_exception_fp_ieee_underflow 0
		.amdhsa_exception_fp_ieee_inexact 0
		.amdhsa_exception_int_div_zero 0
	.end_amdhsa_kernel
	.section	.text._Z30block_run_length_decode_kernelIiiLj256ELj8ELj8EEvPKT_PKT0_PS0_,"axG",@progbits,_Z30block_run_length_decode_kernelIiiLj256ELj8ELj8EEvPKT_PKT0_PS0_,comdat
.Lfunc_end17:
	.size	_Z30block_run_length_decode_kernelIiiLj256ELj8ELj8EEvPKT_PKT0_PS0_, .Lfunc_end17-_Z30block_run_length_decode_kernelIiiLj256ELj8ELj8EEvPKT_PKT0_PS0_
                                        ; -- End function
	.set _Z30block_run_length_decode_kernelIiiLj256ELj8ELj8EEvPKT_PKT0_PS0_.num_vgpr, 28
	.set _Z30block_run_length_decode_kernelIiiLj256ELj8ELj8EEvPKT_PKT0_PS0_.num_agpr, 0
	.set _Z30block_run_length_decode_kernelIiiLj256ELj8ELj8EEvPKT_PKT0_PS0_.numbered_sgpr, 8
	.set _Z30block_run_length_decode_kernelIiiLj256ELj8ELj8EEvPKT_PKT0_PS0_.num_named_barrier, 0
	.set _Z30block_run_length_decode_kernelIiiLj256ELj8ELj8EEvPKT_PKT0_PS0_.private_seg_size, 0
	.set _Z30block_run_length_decode_kernelIiiLj256ELj8ELj8EEvPKT_PKT0_PS0_.uses_vcc, 1
	.set _Z30block_run_length_decode_kernelIiiLj256ELj8ELj8EEvPKT_PKT0_PS0_.uses_flat_scratch, 0
	.set _Z30block_run_length_decode_kernelIiiLj256ELj8ELj8EEvPKT_PKT0_PS0_.has_dyn_sized_stack, 0
	.set _Z30block_run_length_decode_kernelIiiLj256ELj8ELj8EEvPKT_PKT0_PS0_.has_recursion, 0
	.set _Z30block_run_length_decode_kernelIiiLj256ELj8ELj8EEvPKT_PKT0_PS0_.has_indirect_call, 0
	.section	.AMDGPU.csdata,"",@progbits
; Kernel info:
; codeLenInByte = 2492
; TotalNumSgprs: 12
; NumVgprs: 28
; ScratchSize: 0
; MemoryBound: 0
; FloatMode: 240
; IeeeMode: 1
; LDSByteSize: 16384 bytes/workgroup (compile time only)
; SGPRBlocks: 12
; VGPRBlocks: 12
; NumSGPRsForWavesPerEU: 102
; NumVGPRsForWavesPerEU: 49
; Occupancy: 4
; WaveLimiterHint : 0
; COMPUTE_PGM_RSRC2:SCRATCH_EN: 0
; COMPUTE_PGM_RSRC2:USER_SGPR: 6
; COMPUTE_PGM_RSRC2:TRAP_HANDLER: 0
; COMPUTE_PGM_RSRC2:TGID_X_EN: 1
; COMPUTE_PGM_RSRC2:TGID_Y_EN: 0
; COMPUTE_PGM_RSRC2:TGID_Z_EN: 0
; COMPUTE_PGM_RSRC2:TIDIG_COMP_CNT: 0
	.section	.text._Z30block_run_length_decode_kernelI12hip_bfloat16iLj256ELj4ELj4EEvPKT_PKT0_PS1_,"axG",@progbits,_Z30block_run_length_decode_kernelI12hip_bfloat16iLj256ELj4ELj4EEvPKT_PKT0_PS1_,comdat
	.protected	_Z30block_run_length_decode_kernelI12hip_bfloat16iLj256ELj4ELj4EEvPKT_PKT0_PS1_ ; -- Begin function _Z30block_run_length_decode_kernelI12hip_bfloat16iLj256ELj4ELj4EEvPKT_PKT0_PS1_
	.globl	_Z30block_run_length_decode_kernelI12hip_bfloat16iLj256ELj4ELj4EEvPKT_PKT0_PS1_
	.p2align	8
	.type	_Z30block_run_length_decode_kernelI12hip_bfloat16iLj256ELj4ELj4EEvPKT_PKT0_PS1_,@function
_Z30block_run_length_decode_kernelI12hip_bfloat16iLj256ELj4ELj4EEvPKT_PKT0_PS1_: ; @_Z30block_run_length_decode_kernelI12hip_bfloat16iLj256ELj4ELj4EEvPKT_PKT0_PS1_
; %bb.0:
	s_load_dwordx4 s[0:3], s[4:5], 0x0
	v_lshlrev_b32_e32 v10, 2, v0
	v_lshl_or_b32 v5, s6, 10, v10
	v_mov_b32_e32 v6, 0
	v_lshlrev_b64 v[1:2], 2, v[5:6]
	s_waitcnt lgkmcnt(0)
	v_mov_b32_e32 v3, s3
	v_add_co_u32_e32 v1, vcc, s2, v1
	v_addc_co_u32_e32 v2, vcc, v3, v2, vcc
	global_load_dwordx4 v[1:4], v[1:2], off
	v_lshlrev_b64 v[6:7], 1, v[5:6]
	v_mov_b32_e32 v9, s1
	v_add_co_u32_e32 v8, vcc, s0, v6
	v_addc_co_u32_e32 v9, vcc, v9, v7, vcc
	global_load_dwordx2 v[8:9], v[8:9], off
	v_mbcnt_lo_u32_b32 v11, -1, 0
	v_mbcnt_hi_u32_b32 v11, -1, v11
	v_and_b32_e32 v14, 15, v11
	v_cmp_ne_u32_e32 vcc, 0, v14
	v_bfe_i32 v15, v11, 4, 1
	v_or_b32_e32 v13, 63, v0
	v_lshrrev_b32_e32 v12, 6, v0
	s_waitcnt vmcnt(1)
	v_add_u32_e32 v16, v2, v1
	v_add3_u32 v4, v16, v3, v4
	s_nop 1
	v_mov_b32_dpp v16, v4 row_shr:1 row_mask:0xf bank_mask:0xf
	v_cndmask_b32_e32 v16, 0, v16, vcc
	v_add_u32_e32 v4, v16, v4
	v_cmp_lt_u32_e32 vcc, 1, v14
	s_nop 0
	v_mov_b32_dpp v16, v4 row_shr:2 row_mask:0xf bank_mask:0xf
	v_cndmask_b32_e32 v16, 0, v16, vcc
	v_add_u32_e32 v4, v4, v16
	v_cmp_lt_u32_e32 vcc, 3, v14
	;; [unrolled: 5-line block ×4, first 2 shown]
	s_nop 0
	v_mov_b32_dpp v14, v4 row_bcast:15 row_mask:0xf bank_mask:0xf
	v_and_b32_e32 v14, v15, v14
	v_add_u32_e32 v4, v4, v14
	s_nop 1
	v_mov_b32_dpp v14, v4 row_bcast:31 row_mask:0xf bank_mask:0xf
	v_cndmask_b32_e32 v14, 0, v14, vcc
	v_add_u32_e32 v4, v4, v14
	v_cmp_eq_u32_e32 vcc, v0, v13
	s_and_saveexec_b64 s[0:1], vcc
; %bb.1:
	v_lshlrev_b32_e32 v13, 2, v12
	ds_write_b32 v13, v4
; %bb.2:
	s_or_b64 exec, exec, s[0:1]
	v_cmp_gt_u32_e32 vcc, 4, v0
	s_waitcnt vmcnt(0) lgkmcnt(0)
	s_barrier
	s_and_saveexec_b64 s[0:1], vcc
	s_cbranch_execz .LBB18_4
; %bb.3:
	ds_read_b32 v13, v10
	v_and_b32_e32 v14, 3, v11
	v_cmp_ne_u32_e32 vcc, 0, v14
	s_waitcnt lgkmcnt(0)
	v_mov_b32_dpp v15, v13 row_shr:1 row_mask:0xf bank_mask:0xf
	v_cndmask_b32_e32 v15, 0, v15, vcc
	v_add_u32_e32 v13, v15, v13
	v_cmp_lt_u32_e32 vcc, 1, v14
	s_nop 0
	v_mov_b32_dpp v15, v13 row_shr:2 row_mask:0xf bank_mask:0xf
	v_cndmask_b32_e32 v14, 0, v15, vcc
	v_add_u32_e32 v13, v13, v14
	ds_write_b32 v10, v13
.LBB18_4:
	s_or_b64 exec, exec, s[0:1]
	v_cmp_lt_u32_e32 vcc, 63, v0
	v_mov_b32_e32 v13, 0
	v_mov_b32_e32 v14, 0
	s_waitcnt lgkmcnt(0)
	s_barrier
	s_and_saveexec_b64 s[0:1], vcc
; %bb.5:
	v_lshl_add_u32 v12, v12, 2, -4
	ds_read_b32 v14, v12
; %bb.6:
	s_or_b64 exec, exec, s[0:1]
	v_subrev_co_u32_e32 v12, vcc, 1, v11
	v_and_b32_e32 v15, 64, v11
	v_cmp_lt_i32_e64 s[0:1], v12, v15
	v_cndmask_b32_e64 v11, v12, v11, s[0:1]
	s_waitcnt lgkmcnt(0)
	v_add_u32_e32 v4, v14, v4
	v_lshlrev_b32_e32 v11, 2, v11
	ds_bpermute_b32 v4, v11, v4
	ds_read_b32 v13, v13 offset:12
	s_mov_b32 s6, 0
	s_waitcnt lgkmcnt(0)
	s_barrier
	v_cndmask_b32_e32 v4, v4, v14, vcc
	v_cmp_ne_u32_e32 vcc, 0, v0
	v_cndmask_b32_e32 v11, 0, v4, vcc
	v_add_u32_e32 v12, v11, v1
	v_add_u32_e32 v1, v12, v2
	v_add_u32_e32 v2, v1, v3
	v_lshlrev_b32_e32 v3, 1, v10
	v_cmp_eq_u32_e32 vcc, 0, v13
	v_readfirstlane_b32 s7, v13
	v_lshl_add_u32 v0, v0, 3, v3
	s_and_b64 vcc, exec, vcc
	ds_write_b64 v0, v[11:12] offset:2048
	ds_write2_b32 v3, v8, v9 offset1:1
	ds_write_b64 v0, v[1:2] offset:2056
	s_waitcnt lgkmcnt(0)
	s_barrier
	s_cbranch_vccnz .LBB18_35
; %bb.7:
	s_load_dwordx2 s[0:1], s[4:5], 0x10
	v_mov_b32_e32 v0, 0
	ds_read_b32 v2, v0 offset:4096
	v_or_b32_e32 v3, 1, v5
	v_or_b32_e32 v4, 2, v5
	s_waitcnt lgkmcnt(0)
	v_mov_b32_e32 v0, s1
	v_add_co_u32_e32 v1, vcc, s0, v6
	v_addc_co_u32_e32 v6, vcc, v0, v7, vcc
	v_add_co_u32_e32 v0, vcc, 4, v1
	v_or_b32_e32 v8, 3, v5
	v_addc_co_u32_e32 v1, vcc, 0, v6, vcc
	v_mov_b32_e32 v6, 0x201
	v_mov_b32_e32 v7, 0x400
	;; [unrolled: 1-line block ×5, first 2 shown]
	s_movk_i32 s4, 0x3ff
	s_mov_b32 s5, s7
	s_branch .LBB18_9
.LBB18_8:                               ;   in Loop: Header=BB18_9 Depth=1
	s_or_b64 exec, exec, s[0:1]
	s_addk_i32 s6, 0x400
	s_addk_i32 s5, 0xfc00
	v_add_co_u32_e32 v0, vcc, 0x800, v0
	s_cmp_lt_u32 s6, s7
	v_addc_co_u32_e32 v1, vcc, 0, v1, vcc
	s_cbranch_scc0 .LBB18_35
.LBB18_9:                               ; =>This Inner Loop Header: Depth=1
	s_waitcnt lgkmcnt(0)
	v_add_u32_e32 v13, s6, v10
	v_cmp_lt_u32_e32 vcc, v13, v2
	v_cndmask_b32_e32 v15, v11, v12, vcc
	v_lshlrev_b32_e32 v16, 2, v15
	ds_read_b32 v16, v16 offset:2048
	v_cndmask_b32_e64 v14, v6, 0, vcc
	v_cndmask_b32_e32 v17, v7, v9, vcc
	v_or_b32_e32 v18, 1, v15
	s_waitcnt lgkmcnt(0)
	v_cmp_lt_u32_e32 vcc, v13, v16
	v_cndmask_b32_e32 v14, v18, v14, vcc
	v_cndmask_b32_e32 v15, v17, v15, vcc
	v_sub_u32_e32 v16, v15, v14
	v_lshrrev_b16_e32 v17, 15, v16
	v_add_u16_e32 v16, v16, v17
	v_ashrrev_i16_e32 v16, 1, v16
	v_add_u32_sdwa v16, v14, sext(v16) dst_sel:DWORD dst_unused:UNUSED_PAD src0_sel:DWORD src1_sel:WORD_0
	v_min_i32_e32 v16, 0x3ff, v16
	v_lshlrev_b32_e32 v17, 2, v16
	ds_read_b32 v17, v17 offset:2048
	v_add_u32_e32 v18, 1, v16
	s_waitcnt lgkmcnt(0)
	v_cmp_lt_u32_e32 vcc, v13, v17
	v_cndmask_b32_e32 v14, v18, v14, vcc
	v_cndmask_b32_e32 v15, v15, v16, vcc
	v_sub_u32_e32 v16, v15, v14
	v_lshrrev_b16_e32 v17, 15, v16
	v_add_u16_e32 v16, v16, v17
	v_ashrrev_i16_e32 v16, 1, v16
	v_add_u32_sdwa v16, v14, sext(v16) dst_sel:DWORD dst_unused:UNUSED_PAD src0_sel:DWORD src1_sel:WORD_0
	v_min_i32_e32 v16, 0x3ff, v16
	v_lshlrev_b32_e32 v17, 2, v16
	ds_read_b32 v17, v17 offset:2048
	v_add_u32_e32 v18, 1, v16
	;; [unrolled: 13-line block ×9, first 2 shown]
	s_waitcnt lgkmcnt(0)
	v_cmp_lt_u32_e32 vcc, v13, v16
	v_cndmask_b32_e32 v17, v15, v14, vcc
	v_add_u32_e32 v15, -1, v17
	v_cmp_ne_u32_e32 vcc, s4, v15
                                        ; implicit-def: $vgpr16
	s_and_saveexec_b64 s[0:1], vcc
	s_xor_b64 s[0:1], exec, s[0:1]
; %bb.10:                               ;   in Loop: Header=BB18_9 Depth=1
	v_lshlrev_b32_e32 v14, 2, v17
	ds_read_b32 v16, v14 offset:2048
; %bb.11:                               ;   in Loop: Header=BB18_9 Depth=1
	s_andn2_saveexec_b64 s[0:1], s[0:1]
	s_cbranch_execz .LBB18_13
; %bb.12:                               ;   in Loop: Header=BB18_9 Depth=1
	s_waitcnt lgkmcnt(0)
	v_add_u32_e32 v16, 4, v13
.LBB18_13:                              ;   in Loop: Header=BB18_9 Depth=1
	s_or_b64 exec, exec, s[0:1]
	v_lshlrev_b32_e32 v14, 1, v15
	ds_read_u16 v14, v14
	s_waitcnt lgkmcnt(1)
	v_add_u32_e32 v18, -1, v16
	v_cmp_eq_u32_e32 vcc, v13, v18
	s_waitcnt lgkmcnt(0)
	v_mov_b32_e32 v16, v14
	s_and_saveexec_b64 s[0:1], vcc
	s_cbranch_execz .LBB18_19
; %bb.14:                               ;   in Loop: Header=BB18_9 Depth=1
	v_cmp_ne_u32_e32 vcc, s4, v17
                                        ; implicit-def: $vgpr15
	s_and_saveexec_b64 s[2:3], vcc
	s_xor_b64 s[2:3], exec, s[2:3]
; %bb.15:                               ;   in Loop: Header=BB18_9 Depth=1
	v_lshlrev_b32_e32 v15, 2, v17
	ds_read_b32 v15, v15 offset:2052
; %bb.16:                               ;   in Loop: Header=BB18_9 Depth=1
	s_andn2_saveexec_b64 s[2:3], s[2:3]
	s_cbranch_execz .LBB18_18
; %bb.17:                               ;   in Loop: Header=BB18_9 Depth=1
	s_waitcnt lgkmcnt(0)
	v_add_u32_e32 v15, 4, v13
.LBB18_18:                              ;   in Loop: Header=BB18_9 Depth=1
	s_or_b64 exec, exec, s[2:3]
	v_lshlrev_b32_e32 v16, 1, v17
	ds_read_u16 v16, v16
	s_waitcnt lgkmcnt(1)
	v_add_u32_e32 v18, -1, v15
	v_mov_b32_e32 v15, v17
.LBB18_19:                              ;   in Loop: Header=BB18_9 Depth=1
	s_or_b64 exec, exec, s[0:1]
	v_add_u32_e32 v17, 1, v13
	v_cmp_eq_u32_e32 vcc, v17, v18
	s_waitcnt lgkmcnt(0)
	v_mov_b32_e32 v17, v16
	s_and_saveexec_b64 s[0:1], vcc
	s_cbranch_execz .LBB18_25
; %bb.20:                               ;   in Loop: Header=BB18_9 Depth=1
	v_add_u32_e32 v19, 1, v15
	v_cmp_ne_u32_e32 vcc, s4, v19
                                        ; implicit-def: $vgpr18
	s_and_saveexec_b64 s[2:3], vcc
	s_xor_b64 s[2:3], exec, s[2:3]
; %bb.21:                               ;   in Loop: Header=BB18_9 Depth=1
	v_lshlrev_b32_e32 v17, 2, v15
	ds_read_b32 v18, v17 offset:2056
; %bb.22:                               ;   in Loop: Header=BB18_9 Depth=1
	s_andn2_saveexec_b64 s[2:3], s[2:3]
	s_cbranch_execz .LBB18_24
; %bb.23:                               ;   in Loop: Header=BB18_9 Depth=1
	s_waitcnt lgkmcnt(0)
	v_add_u32_e32 v18, 5, v13
.LBB18_24:                              ;   in Loop: Header=BB18_9 Depth=1
	s_or_b64 exec, exec, s[2:3]
	v_lshlrev_b32_e32 v15, 1, v15
	ds_read_u16 v17, v15 offset:2
	s_waitcnt lgkmcnt(1)
	v_add_u32_e32 v18, -1, v18
	v_mov_b32_e32 v15, v19
.LBB18_25:                              ;   in Loop: Header=BB18_9 Depth=1
	s_or_b64 exec, exec, s[0:1]
	v_add_u32_e32 v13, 2, v13
	v_cmp_eq_u32_e32 vcc, v13, v18
	s_waitcnt lgkmcnt(0)
	v_mov_b32_e32 v13, v17
	s_and_saveexec_b64 s[0:1], vcc
; %bb.26:                               ;   in Loop: Header=BB18_9 Depth=1
	v_lshlrev_b32_e32 v13, 1, v15
	ds_read_u16 v13, v13 offset:2
; %bb.27:                               ;   in Loop: Header=BB18_9 Depth=1
	s_or_b64 exec, exec, s[0:1]
	s_min_u32 s2, s5, 0x400
	v_cmp_gt_u32_e32 vcc, s2, v5
	s_and_saveexec_b64 s[0:1], vcc
	s_cbranch_execnz .LBB18_31
; %bb.28:                               ;   in Loop: Header=BB18_9 Depth=1
	s_or_b64 exec, exec, s[0:1]
	v_cmp_gt_u32_e32 vcc, s2, v3
	s_and_saveexec_b64 s[0:1], vcc
	s_cbranch_execnz .LBB18_32
.LBB18_29:                              ;   in Loop: Header=BB18_9 Depth=1
	s_or_b64 exec, exec, s[0:1]
	v_cmp_gt_u32_e32 vcc, s2, v4
	s_and_saveexec_b64 s[0:1], vcc
	s_cbranch_execnz .LBB18_33
.LBB18_30:                              ;   in Loop: Header=BB18_9 Depth=1
	s_or_b64 exec, exec, s[0:1]
	v_cmp_gt_u32_e32 vcc, s2, v8
	s_and_saveexec_b64 s[0:1], vcc
	s_cbranch_execz .LBB18_8
	s_branch .LBB18_34
.LBB18_31:                              ;   in Loop: Header=BB18_9 Depth=1
	global_store_short v[0:1], v14, off offset:-4
	s_or_b64 exec, exec, s[0:1]
	v_cmp_gt_u32_e32 vcc, s2, v3
	s_and_saveexec_b64 s[0:1], vcc
	s_cbranch_execz .LBB18_29
.LBB18_32:                              ;   in Loop: Header=BB18_9 Depth=1
	global_store_short v[0:1], v16, off offset:-2
	s_or_b64 exec, exec, s[0:1]
	v_cmp_gt_u32_e32 vcc, s2, v4
	s_and_saveexec_b64 s[0:1], vcc
	s_cbranch_execz .LBB18_30
.LBB18_33:                              ;   in Loop: Header=BB18_9 Depth=1
	global_store_short v[0:1], v17, off
	s_or_b64 exec, exec, s[0:1]
	v_cmp_gt_u32_e32 vcc, s2, v8
	s_and_saveexec_b64 s[0:1], vcc
	s_cbranch_execz .LBB18_8
.LBB18_34:                              ;   in Loop: Header=BB18_9 Depth=1
	s_waitcnt lgkmcnt(0)
	global_store_short v[0:1], v13, off offset:2
	s_branch .LBB18_8
.LBB18_35:
	s_endpgm
	.section	.rodata,"a",@progbits
	.p2align	6, 0x0
	.amdhsa_kernel _Z30block_run_length_decode_kernelI12hip_bfloat16iLj256ELj4ELj4EEvPKT_PKT0_PS1_
		.amdhsa_group_segment_fixed_size 6144
		.amdhsa_private_segment_fixed_size 0
		.amdhsa_kernarg_size 24
		.amdhsa_user_sgpr_count 6
		.amdhsa_user_sgpr_private_segment_buffer 1
		.amdhsa_user_sgpr_dispatch_ptr 0
		.amdhsa_user_sgpr_queue_ptr 0
		.amdhsa_user_sgpr_kernarg_segment_ptr 1
		.amdhsa_user_sgpr_dispatch_id 0
		.amdhsa_user_sgpr_flat_scratch_init 0
		.amdhsa_user_sgpr_private_segment_size 0
		.amdhsa_uses_dynamic_stack 0
		.amdhsa_system_sgpr_private_segment_wavefront_offset 0
		.amdhsa_system_sgpr_workgroup_id_x 1
		.amdhsa_system_sgpr_workgroup_id_y 0
		.amdhsa_system_sgpr_workgroup_id_z 0
		.amdhsa_system_sgpr_workgroup_info 0
		.amdhsa_system_vgpr_workitem_id 0
		.amdhsa_next_free_vgpr 20
		.amdhsa_next_free_sgpr 8
		.amdhsa_reserve_vcc 1
		.amdhsa_reserve_flat_scratch 0
		.amdhsa_float_round_mode_32 0
		.amdhsa_float_round_mode_16_64 0
		.amdhsa_float_denorm_mode_32 3
		.amdhsa_float_denorm_mode_16_64 3
		.amdhsa_dx10_clamp 1
		.amdhsa_ieee_mode 1
		.amdhsa_fp16_overflow 0
		.amdhsa_exception_fp_ieee_invalid_op 0
		.amdhsa_exception_fp_denorm_src 0
		.amdhsa_exception_fp_ieee_div_zero 0
		.amdhsa_exception_fp_ieee_overflow 0
		.amdhsa_exception_fp_ieee_underflow 0
		.amdhsa_exception_fp_ieee_inexact 0
		.amdhsa_exception_int_div_zero 0
	.end_amdhsa_kernel
	.section	.text._Z30block_run_length_decode_kernelI12hip_bfloat16iLj256ELj4ELj4EEvPKT_PKT0_PS1_,"axG",@progbits,_Z30block_run_length_decode_kernelI12hip_bfloat16iLj256ELj4ELj4EEvPKT_PKT0_PS1_,comdat
.Lfunc_end18:
	.size	_Z30block_run_length_decode_kernelI12hip_bfloat16iLj256ELj4ELj4EEvPKT_PKT0_PS1_, .Lfunc_end18-_Z30block_run_length_decode_kernelI12hip_bfloat16iLj256ELj4ELj4EEvPKT_PKT0_PS1_
                                        ; -- End function
	.set _Z30block_run_length_decode_kernelI12hip_bfloat16iLj256ELj4ELj4EEvPKT_PKT0_PS1_.num_vgpr, 20
	.set _Z30block_run_length_decode_kernelI12hip_bfloat16iLj256ELj4ELj4EEvPKT_PKT0_PS1_.num_agpr, 0
	.set _Z30block_run_length_decode_kernelI12hip_bfloat16iLj256ELj4ELj4EEvPKT_PKT0_PS1_.numbered_sgpr, 8
	.set _Z30block_run_length_decode_kernelI12hip_bfloat16iLj256ELj4ELj4EEvPKT_PKT0_PS1_.num_named_barrier, 0
	.set _Z30block_run_length_decode_kernelI12hip_bfloat16iLj256ELj4ELj4EEvPKT_PKT0_PS1_.private_seg_size, 0
	.set _Z30block_run_length_decode_kernelI12hip_bfloat16iLj256ELj4ELj4EEvPKT_PKT0_PS1_.uses_vcc, 1
	.set _Z30block_run_length_decode_kernelI12hip_bfloat16iLj256ELj4ELj4EEvPKT_PKT0_PS1_.uses_flat_scratch, 0
	.set _Z30block_run_length_decode_kernelI12hip_bfloat16iLj256ELj4ELj4EEvPKT_PKT0_PS1_.has_dyn_sized_stack, 0
	.set _Z30block_run_length_decode_kernelI12hip_bfloat16iLj256ELj4ELj4EEvPKT_PKT0_PS1_.has_recursion, 0
	.set _Z30block_run_length_decode_kernelI12hip_bfloat16iLj256ELj4ELj4EEvPKT_PKT0_PS1_.has_indirect_call, 0
	.section	.AMDGPU.csdata,"",@progbits
; Kernel info:
; codeLenInByte = 1816
; TotalNumSgprs: 12
; NumVgprs: 20
; ScratchSize: 0
; MemoryBound: 0
; FloatMode: 240
; IeeeMode: 1
; LDSByteSize: 6144 bytes/workgroup (compile time only)
; SGPRBlocks: 1
; VGPRBlocks: 4
; NumSGPRsForWavesPerEU: 12
; NumVGPRsForWavesPerEU: 20
; Occupancy: 10
; WaveLimiterHint : 0
; COMPUTE_PGM_RSRC2:SCRATCH_EN: 0
; COMPUTE_PGM_RSRC2:USER_SGPR: 6
; COMPUTE_PGM_RSRC2:TRAP_HANDLER: 0
; COMPUTE_PGM_RSRC2:TGID_X_EN: 1
; COMPUTE_PGM_RSRC2:TGID_Y_EN: 0
; COMPUTE_PGM_RSRC2:TGID_Z_EN: 0
; COMPUTE_PGM_RSRC2:TIDIG_COMP_CNT: 0
	.section	.text._Z30block_run_length_decode_kernelI6__halfiLj256ELj4ELj4EEvPKT_PKT0_PS1_,"axG",@progbits,_Z30block_run_length_decode_kernelI6__halfiLj256ELj4ELj4EEvPKT_PKT0_PS1_,comdat
	.protected	_Z30block_run_length_decode_kernelI6__halfiLj256ELj4ELj4EEvPKT_PKT0_PS1_ ; -- Begin function _Z30block_run_length_decode_kernelI6__halfiLj256ELj4ELj4EEvPKT_PKT0_PS1_
	.globl	_Z30block_run_length_decode_kernelI6__halfiLj256ELj4ELj4EEvPKT_PKT0_PS1_
	.p2align	8
	.type	_Z30block_run_length_decode_kernelI6__halfiLj256ELj4ELj4EEvPKT_PKT0_PS1_,@function
_Z30block_run_length_decode_kernelI6__halfiLj256ELj4ELj4EEvPKT_PKT0_PS1_: ; @_Z30block_run_length_decode_kernelI6__halfiLj256ELj4ELj4EEvPKT_PKT0_PS1_
; %bb.0:
	s_load_dwordx4 s[0:3], s[4:5], 0x0
	v_lshlrev_b32_e32 v10, 2, v0
	v_lshl_or_b32 v5, s6, 10, v10
	v_mov_b32_e32 v6, 0
	v_lshlrev_b64 v[1:2], 2, v[5:6]
	s_waitcnt lgkmcnt(0)
	v_mov_b32_e32 v3, s3
	v_add_co_u32_e32 v1, vcc, s2, v1
	v_addc_co_u32_e32 v2, vcc, v3, v2, vcc
	global_load_dwordx4 v[1:4], v[1:2], off
	v_lshlrev_b64 v[6:7], 1, v[5:6]
	v_mov_b32_e32 v9, s1
	v_add_co_u32_e32 v8, vcc, s0, v6
	v_addc_co_u32_e32 v9, vcc, v9, v7, vcc
	global_load_dwordx2 v[8:9], v[8:9], off
	v_mbcnt_lo_u32_b32 v11, -1, 0
	v_mbcnt_hi_u32_b32 v11, -1, v11
	v_and_b32_e32 v14, 15, v11
	v_cmp_ne_u32_e32 vcc, 0, v14
	v_bfe_i32 v15, v11, 4, 1
	v_or_b32_e32 v13, 63, v0
	v_lshrrev_b32_e32 v12, 6, v0
	s_waitcnt vmcnt(1)
	v_add_u32_e32 v16, v2, v1
	v_add3_u32 v4, v16, v3, v4
	s_nop 1
	v_mov_b32_dpp v16, v4 row_shr:1 row_mask:0xf bank_mask:0xf
	v_cndmask_b32_e32 v16, 0, v16, vcc
	v_add_u32_e32 v4, v16, v4
	v_cmp_lt_u32_e32 vcc, 1, v14
	s_nop 0
	v_mov_b32_dpp v16, v4 row_shr:2 row_mask:0xf bank_mask:0xf
	v_cndmask_b32_e32 v16, 0, v16, vcc
	v_add_u32_e32 v4, v4, v16
	v_cmp_lt_u32_e32 vcc, 3, v14
	;; [unrolled: 5-line block ×4, first 2 shown]
	s_nop 0
	v_mov_b32_dpp v14, v4 row_bcast:15 row_mask:0xf bank_mask:0xf
	v_and_b32_e32 v14, v15, v14
	v_add_u32_e32 v4, v4, v14
	s_nop 1
	v_mov_b32_dpp v14, v4 row_bcast:31 row_mask:0xf bank_mask:0xf
	v_cndmask_b32_e32 v14, 0, v14, vcc
	v_add_u32_e32 v4, v4, v14
	v_cmp_eq_u32_e32 vcc, v0, v13
	s_and_saveexec_b64 s[0:1], vcc
; %bb.1:
	v_lshlrev_b32_e32 v13, 2, v12
	ds_write_b32 v13, v4
; %bb.2:
	s_or_b64 exec, exec, s[0:1]
	v_cmp_gt_u32_e32 vcc, 4, v0
	s_waitcnt vmcnt(0) lgkmcnt(0)
	s_barrier
	s_and_saveexec_b64 s[0:1], vcc
	s_cbranch_execz .LBB19_4
; %bb.3:
	ds_read_b32 v13, v10
	v_and_b32_e32 v14, 3, v11
	v_cmp_ne_u32_e32 vcc, 0, v14
	s_waitcnt lgkmcnt(0)
	v_mov_b32_dpp v15, v13 row_shr:1 row_mask:0xf bank_mask:0xf
	v_cndmask_b32_e32 v15, 0, v15, vcc
	v_add_u32_e32 v13, v15, v13
	v_cmp_lt_u32_e32 vcc, 1, v14
	s_nop 0
	v_mov_b32_dpp v15, v13 row_shr:2 row_mask:0xf bank_mask:0xf
	v_cndmask_b32_e32 v14, 0, v15, vcc
	v_add_u32_e32 v13, v13, v14
	ds_write_b32 v10, v13
.LBB19_4:
	s_or_b64 exec, exec, s[0:1]
	v_cmp_lt_u32_e32 vcc, 63, v0
	v_mov_b32_e32 v13, 0
	v_mov_b32_e32 v14, 0
	s_waitcnt lgkmcnt(0)
	s_barrier
	s_and_saveexec_b64 s[0:1], vcc
; %bb.5:
	v_lshl_add_u32 v12, v12, 2, -4
	ds_read_b32 v14, v12
; %bb.6:
	s_or_b64 exec, exec, s[0:1]
	v_subrev_co_u32_e32 v12, vcc, 1, v11
	v_and_b32_e32 v15, 64, v11
	v_cmp_lt_i32_e64 s[0:1], v12, v15
	v_cndmask_b32_e64 v11, v12, v11, s[0:1]
	s_waitcnt lgkmcnt(0)
	v_add_u32_e32 v4, v14, v4
	v_lshlrev_b32_e32 v11, 2, v11
	ds_bpermute_b32 v4, v11, v4
	ds_read_b32 v13, v13 offset:12
	s_mov_b32 s6, 0
	s_waitcnt lgkmcnt(0)
	s_barrier
	v_cndmask_b32_e32 v4, v4, v14, vcc
	v_cmp_ne_u32_e32 vcc, 0, v0
	v_cndmask_b32_e32 v11, 0, v4, vcc
	v_add_u32_e32 v12, v11, v1
	v_add_u32_e32 v1, v12, v2
	v_add_u32_e32 v2, v1, v3
	v_lshlrev_b32_e32 v3, 1, v10
	v_cmp_eq_u32_e32 vcc, 0, v13
	v_readfirstlane_b32 s7, v13
	v_lshl_add_u32 v0, v0, 3, v3
	s_and_b64 vcc, exec, vcc
	ds_write_b64 v0, v[11:12] offset:2048
	ds_write2_b32 v3, v8, v9 offset1:1
	ds_write_b64 v0, v[1:2] offset:2056
	s_waitcnt lgkmcnt(0)
	s_barrier
	s_cbranch_vccnz .LBB19_35
; %bb.7:
	s_load_dwordx2 s[0:1], s[4:5], 0x10
	v_mov_b32_e32 v0, 0
	ds_read_b32 v8, v0 offset:4096
	v_or_b32_e32 v2, 1, v5
	v_or_b32_e32 v3, 2, v5
	s_waitcnt lgkmcnt(0)
	v_mov_b32_e32 v0, s1
	v_add_co_u32_e32 v1, vcc, s0, v6
	v_addc_co_u32_e32 v6, vcc, v0, v7, vcc
	v_add_co_u32_e32 v0, vcc, 4, v1
	v_or_b32_e32 v4, 3, v5
	v_addc_co_u32_e32 v1, vcc, 0, v6, vcc
	v_mov_b32_e32 v6, 0x201
	v_mov_b32_e32 v7, 0x400
	;; [unrolled: 1-line block ×5, first 2 shown]
	s_movk_i32 s4, 0x3ff
	s_mov_b32 s5, s7
	s_branch .LBB19_9
.LBB19_8:                               ;   in Loop: Header=BB19_9 Depth=1
	s_or_b64 exec, exec, s[0:1]
	s_addk_i32 s6, 0x400
	s_addk_i32 s5, 0xfc00
	v_add_co_u32_e32 v0, vcc, 0x800, v0
	s_cmp_lt_u32 s6, s7
	v_addc_co_u32_e32 v1, vcc, 0, v1, vcc
	s_cbranch_scc0 .LBB19_35
.LBB19_9:                               ; =>This Inner Loop Header: Depth=1
	s_waitcnt lgkmcnt(0)
	v_add_u32_e32 v13, s6, v10
	v_cmp_lt_u32_e32 vcc, v13, v8
	v_cndmask_b32_e32 v15, v11, v12, vcc
	v_lshlrev_b32_e32 v16, 2, v15
	ds_read_b32 v16, v16 offset:2048
	v_cndmask_b32_e64 v14, v6, 0, vcc
	v_cndmask_b32_e32 v17, v7, v9, vcc
	v_or_b32_e32 v18, 1, v15
	s_waitcnt lgkmcnt(0)
	v_cmp_lt_u32_e32 vcc, v13, v16
	v_cndmask_b32_e32 v14, v18, v14, vcc
	v_cndmask_b32_e32 v15, v17, v15, vcc
	v_sub_u32_e32 v16, v15, v14
	v_lshrrev_b16_e32 v17, 15, v16
	v_add_u16_e32 v16, v16, v17
	v_ashrrev_i16_e32 v16, 1, v16
	v_add_u32_sdwa v16, v14, sext(v16) dst_sel:DWORD dst_unused:UNUSED_PAD src0_sel:DWORD src1_sel:WORD_0
	v_min_i32_e32 v16, 0x3ff, v16
	v_lshlrev_b32_e32 v17, 2, v16
	ds_read_b32 v17, v17 offset:2048
	v_add_u32_e32 v18, 1, v16
	s_waitcnt lgkmcnt(0)
	v_cmp_lt_u32_e32 vcc, v13, v17
	v_cndmask_b32_e32 v14, v18, v14, vcc
	v_cndmask_b32_e32 v15, v15, v16, vcc
	v_sub_u32_e32 v16, v15, v14
	v_lshrrev_b16_e32 v17, 15, v16
	v_add_u16_e32 v16, v16, v17
	v_ashrrev_i16_e32 v16, 1, v16
	v_add_u32_sdwa v16, v14, sext(v16) dst_sel:DWORD dst_unused:UNUSED_PAD src0_sel:DWORD src1_sel:WORD_0
	v_min_i32_e32 v16, 0x3ff, v16
	v_lshlrev_b32_e32 v17, 2, v16
	ds_read_b32 v17, v17 offset:2048
	v_add_u32_e32 v18, 1, v16
	;; [unrolled: 13-line block ×9, first 2 shown]
	s_waitcnt lgkmcnt(0)
	v_cmp_lt_u32_e32 vcc, v13, v16
	v_cndmask_b32_e32 v17, v15, v14, vcc
	v_add_u32_e32 v15, -1, v17
	v_cmp_ne_u32_e32 vcc, s4, v15
                                        ; implicit-def: $vgpr16
	s_and_saveexec_b64 s[0:1], vcc
	s_xor_b64 s[0:1], exec, s[0:1]
; %bb.10:                               ;   in Loop: Header=BB19_9 Depth=1
	v_lshlrev_b32_e32 v14, 2, v17
	ds_read_b32 v16, v14 offset:2048
; %bb.11:                               ;   in Loop: Header=BB19_9 Depth=1
	s_andn2_saveexec_b64 s[0:1], s[0:1]
	s_cbranch_execz .LBB19_13
; %bb.12:                               ;   in Loop: Header=BB19_9 Depth=1
	s_waitcnt lgkmcnt(0)
	v_add_u32_e32 v16, 4, v13
.LBB19_13:                              ;   in Loop: Header=BB19_9 Depth=1
	s_or_b64 exec, exec, s[0:1]
	v_lshlrev_b32_e32 v14, 1, v15
	ds_read_u16 v14, v14
	s_waitcnt lgkmcnt(1)
	v_add_u32_e32 v18, -1, v16
	v_cmp_eq_u32_e32 vcc, v13, v18
	s_waitcnt lgkmcnt(0)
	v_mov_b32_e32 v16, v14
	s_and_saveexec_b64 s[0:1], vcc
	s_cbranch_execz .LBB19_19
; %bb.14:                               ;   in Loop: Header=BB19_9 Depth=1
	v_cmp_ne_u32_e32 vcc, s4, v17
                                        ; implicit-def: $vgpr15
	s_and_saveexec_b64 s[2:3], vcc
	s_xor_b64 s[2:3], exec, s[2:3]
; %bb.15:                               ;   in Loop: Header=BB19_9 Depth=1
	v_lshlrev_b32_e32 v15, 2, v17
	ds_read_b32 v15, v15 offset:2052
; %bb.16:                               ;   in Loop: Header=BB19_9 Depth=1
	s_andn2_saveexec_b64 s[2:3], s[2:3]
	s_cbranch_execz .LBB19_18
; %bb.17:                               ;   in Loop: Header=BB19_9 Depth=1
	s_waitcnt lgkmcnt(0)
	v_add_u32_e32 v15, 4, v13
.LBB19_18:                              ;   in Loop: Header=BB19_9 Depth=1
	s_or_b64 exec, exec, s[2:3]
	v_lshlrev_b32_e32 v16, 1, v17
	ds_read_u16 v16, v16
	s_waitcnt lgkmcnt(1)
	v_add_u32_e32 v18, -1, v15
	v_mov_b32_e32 v15, v17
.LBB19_19:                              ;   in Loop: Header=BB19_9 Depth=1
	s_or_b64 exec, exec, s[0:1]
	v_add_u32_e32 v17, 1, v13
	v_cmp_eq_u32_e32 vcc, v17, v18
	s_waitcnt lgkmcnt(0)
	v_mov_b32_e32 v17, v16
	s_and_saveexec_b64 s[0:1], vcc
	s_cbranch_execz .LBB19_25
; %bb.20:                               ;   in Loop: Header=BB19_9 Depth=1
	v_add_u32_e32 v19, 1, v15
	v_cmp_ne_u32_e32 vcc, s4, v19
                                        ; implicit-def: $vgpr18
	s_and_saveexec_b64 s[2:3], vcc
	s_xor_b64 s[2:3], exec, s[2:3]
; %bb.21:                               ;   in Loop: Header=BB19_9 Depth=1
	v_lshlrev_b32_e32 v17, 2, v15
	ds_read_b32 v18, v17 offset:2056
; %bb.22:                               ;   in Loop: Header=BB19_9 Depth=1
	s_andn2_saveexec_b64 s[2:3], s[2:3]
	s_cbranch_execz .LBB19_24
; %bb.23:                               ;   in Loop: Header=BB19_9 Depth=1
	s_waitcnt lgkmcnt(0)
	v_add_u32_e32 v18, 5, v13
.LBB19_24:                              ;   in Loop: Header=BB19_9 Depth=1
	s_or_b64 exec, exec, s[2:3]
	v_lshlrev_b32_e32 v15, 1, v15
	ds_read_u16 v17, v15 offset:2
	s_waitcnt lgkmcnt(1)
	v_add_u32_e32 v18, -1, v18
	v_mov_b32_e32 v15, v19
.LBB19_25:                              ;   in Loop: Header=BB19_9 Depth=1
	s_or_b64 exec, exec, s[0:1]
	v_add_u32_e32 v13, 2, v13
	v_cmp_eq_u32_e32 vcc, v13, v18
	s_waitcnt lgkmcnt(0)
	v_mov_b32_e32 v13, v17
	s_and_saveexec_b64 s[0:1], vcc
; %bb.26:                               ;   in Loop: Header=BB19_9 Depth=1
	v_lshlrev_b32_e32 v13, 1, v15
	ds_read_u16 v13, v13 offset:2
; %bb.27:                               ;   in Loop: Header=BB19_9 Depth=1
	s_or_b64 exec, exec, s[0:1]
	s_min_u32 s2, s5, 0x400
	v_cmp_gt_u32_e32 vcc, s2, v5
	s_and_saveexec_b64 s[0:1], vcc
	s_cbranch_execnz .LBB19_31
; %bb.28:                               ;   in Loop: Header=BB19_9 Depth=1
	s_or_b64 exec, exec, s[0:1]
	v_cmp_gt_u32_e32 vcc, s2, v2
	s_and_saveexec_b64 s[0:1], vcc
	s_cbranch_execnz .LBB19_32
.LBB19_29:                              ;   in Loop: Header=BB19_9 Depth=1
	s_or_b64 exec, exec, s[0:1]
	v_cmp_gt_u32_e32 vcc, s2, v3
	s_and_saveexec_b64 s[0:1], vcc
	s_cbranch_execnz .LBB19_33
.LBB19_30:                              ;   in Loop: Header=BB19_9 Depth=1
	s_or_b64 exec, exec, s[0:1]
	v_cmp_gt_u32_e32 vcc, s2, v4
	s_and_saveexec_b64 s[0:1], vcc
	s_cbranch_execz .LBB19_8
	s_branch .LBB19_34
.LBB19_31:                              ;   in Loop: Header=BB19_9 Depth=1
	global_store_short v[0:1], v14, off offset:-4
	s_or_b64 exec, exec, s[0:1]
	v_cmp_gt_u32_e32 vcc, s2, v2
	s_and_saveexec_b64 s[0:1], vcc
	s_cbranch_execz .LBB19_29
.LBB19_32:                              ;   in Loop: Header=BB19_9 Depth=1
	global_store_short v[0:1], v16, off offset:-2
	s_or_b64 exec, exec, s[0:1]
	v_cmp_gt_u32_e32 vcc, s2, v3
	s_and_saveexec_b64 s[0:1], vcc
	s_cbranch_execz .LBB19_30
.LBB19_33:                              ;   in Loop: Header=BB19_9 Depth=1
	global_store_short v[0:1], v17, off
	s_or_b64 exec, exec, s[0:1]
	v_cmp_gt_u32_e32 vcc, s2, v4
	s_and_saveexec_b64 s[0:1], vcc
	s_cbranch_execz .LBB19_8
.LBB19_34:                              ;   in Loop: Header=BB19_9 Depth=1
	s_waitcnt lgkmcnt(0)
	global_store_short v[0:1], v13, off offset:2
	s_branch .LBB19_8
.LBB19_35:
	s_endpgm
	.section	.rodata,"a",@progbits
	.p2align	6, 0x0
	.amdhsa_kernel _Z30block_run_length_decode_kernelI6__halfiLj256ELj4ELj4EEvPKT_PKT0_PS1_
		.amdhsa_group_segment_fixed_size 6144
		.amdhsa_private_segment_fixed_size 0
		.amdhsa_kernarg_size 24
		.amdhsa_user_sgpr_count 6
		.amdhsa_user_sgpr_private_segment_buffer 1
		.amdhsa_user_sgpr_dispatch_ptr 0
		.amdhsa_user_sgpr_queue_ptr 0
		.amdhsa_user_sgpr_kernarg_segment_ptr 1
		.amdhsa_user_sgpr_dispatch_id 0
		.amdhsa_user_sgpr_flat_scratch_init 0
		.amdhsa_user_sgpr_private_segment_size 0
		.amdhsa_uses_dynamic_stack 0
		.amdhsa_system_sgpr_private_segment_wavefront_offset 0
		.amdhsa_system_sgpr_workgroup_id_x 1
		.amdhsa_system_sgpr_workgroup_id_y 0
		.amdhsa_system_sgpr_workgroup_id_z 0
		.amdhsa_system_sgpr_workgroup_info 0
		.amdhsa_system_vgpr_workitem_id 0
		.amdhsa_next_free_vgpr 20
		.amdhsa_next_free_sgpr 8
		.amdhsa_reserve_vcc 1
		.amdhsa_reserve_flat_scratch 0
		.amdhsa_float_round_mode_32 0
		.amdhsa_float_round_mode_16_64 0
		.amdhsa_float_denorm_mode_32 3
		.amdhsa_float_denorm_mode_16_64 3
		.amdhsa_dx10_clamp 1
		.amdhsa_ieee_mode 1
		.amdhsa_fp16_overflow 0
		.amdhsa_exception_fp_ieee_invalid_op 0
		.amdhsa_exception_fp_denorm_src 0
		.amdhsa_exception_fp_ieee_div_zero 0
		.amdhsa_exception_fp_ieee_overflow 0
		.amdhsa_exception_fp_ieee_underflow 0
		.amdhsa_exception_fp_ieee_inexact 0
		.amdhsa_exception_int_div_zero 0
	.end_amdhsa_kernel
	.section	.text._Z30block_run_length_decode_kernelI6__halfiLj256ELj4ELj4EEvPKT_PKT0_PS1_,"axG",@progbits,_Z30block_run_length_decode_kernelI6__halfiLj256ELj4ELj4EEvPKT_PKT0_PS1_,comdat
.Lfunc_end19:
	.size	_Z30block_run_length_decode_kernelI6__halfiLj256ELj4ELj4EEvPKT_PKT0_PS1_, .Lfunc_end19-_Z30block_run_length_decode_kernelI6__halfiLj256ELj4ELj4EEvPKT_PKT0_PS1_
                                        ; -- End function
	.set _Z30block_run_length_decode_kernelI6__halfiLj256ELj4ELj4EEvPKT_PKT0_PS1_.num_vgpr, 20
	.set _Z30block_run_length_decode_kernelI6__halfiLj256ELj4ELj4EEvPKT_PKT0_PS1_.num_agpr, 0
	.set _Z30block_run_length_decode_kernelI6__halfiLj256ELj4ELj4EEvPKT_PKT0_PS1_.numbered_sgpr, 8
	.set _Z30block_run_length_decode_kernelI6__halfiLj256ELj4ELj4EEvPKT_PKT0_PS1_.num_named_barrier, 0
	.set _Z30block_run_length_decode_kernelI6__halfiLj256ELj4ELj4EEvPKT_PKT0_PS1_.private_seg_size, 0
	.set _Z30block_run_length_decode_kernelI6__halfiLj256ELj4ELj4EEvPKT_PKT0_PS1_.uses_vcc, 1
	.set _Z30block_run_length_decode_kernelI6__halfiLj256ELj4ELj4EEvPKT_PKT0_PS1_.uses_flat_scratch, 0
	.set _Z30block_run_length_decode_kernelI6__halfiLj256ELj4ELj4EEvPKT_PKT0_PS1_.has_dyn_sized_stack, 0
	.set _Z30block_run_length_decode_kernelI6__halfiLj256ELj4ELj4EEvPKT_PKT0_PS1_.has_recursion, 0
	.set _Z30block_run_length_decode_kernelI6__halfiLj256ELj4ELj4EEvPKT_PKT0_PS1_.has_indirect_call, 0
	.section	.AMDGPU.csdata,"",@progbits
; Kernel info:
; codeLenInByte = 1816
; TotalNumSgprs: 12
; NumVgprs: 20
; ScratchSize: 0
; MemoryBound: 0
; FloatMode: 240
; IeeeMode: 1
; LDSByteSize: 6144 bytes/workgroup (compile time only)
; SGPRBlocks: 1
; VGPRBlocks: 4
; NumSGPRsForWavesPerEU: 12
; NumVGPRsForWavesPerEU: 20
; Occupancy: 10
; WaveLimiterHint : 0
; COMPUTE_PGM_RSRC2:SCRATCH_EN: 0
; COMPUTE_PGM_RSRC2:USER_SGPR: 6
; COMPUTE_PGM_RSRC2:TRAP_HANDLER: 0
; COMPUTE_PGM_RSRC2:TGID_X_EN: 1
; COMPUTE_PGM_RSRC2:TGID_Y_EN: 0
; COMPUTE_PGM_RSRC2:TGID_Z_EN: 0
; COMPUTE_PGM_RSRC2:TIDIG_COMP_CNT: 0
	.section	.text._Z30block_run_length_decode_kernelIfiLj256ELj4ELj4EEvPKT_PKT0_PS0_,"axG",@progbits,_Z30block_run_length_decode_kernelIfiLj256ELj4ELj4EEvPKT_PKT0_PS0_,comdat
	.protected	_Z30block_run_length_decode_kernelIfiLj256ELj4ELj4EEvPKT_PKT0_PS0_ ; -- Begin function _Z30block_run_length_decode_kernelIfiLj256ELj4ELj4EEvPKT_PKT0_PS0_
	.globl	_Z30block_run_length_decode_kernelIfiLj256ELj4ELj4EEvPKT_PKT0_PS0_
	.p2align	8
	.type	_Z30block_run_length_decode_kernelIfiLj256ELj4ELj4EEvPKT_PKT0_PS0_,@function
_Z30block_run_length_decode_kernelIfiLj256ELj4ELj4EEvPKT_PKT0_PS0_: ; @_Z30block_run_length_decode_kernelIfiLj256ELj4ELj4EEvPKT_PKT0_PS0_
; %bb.0:
	s_load_dwordx4 s[0:3], s[4:5], 0x0
	v_lshlrev_b32_e32 v12, 2, v0
	v_lshl_or_b32 v9, s6, 10, v12
	v_mov_b32_e32 v10, 0
	v_lshlrev_b64 v[10:11], 2, v[9:10]
	s_waitcnt lgkmcnt(0)
	v_mov_b32_e32 v2, s3
	v_add_co_u32_e32 v1, vcc, s2, v10
	v_addc_co_u32_e32 v2, vcc, v2, v11, vcc
	global_load_dwordx4 v[5:8], v[1:2], off
	v_mov_b32_e32 v2, s1
	v_add_co_u32_e32 v1, vcc, s0, v10
	v_addc_co_u32_e32 v2, vcc, v2, v11, vcc
	global_load_dwordx4 v[1:4], v[1:2], off
	v_mbcnt_lo_u32_b32 v13, -1, 0
	v_mbcnt_hi_u32_b32 v13, -1, v13
	v_and_b32_e32 v16, 15, v13
	v_cmp_ne_u32_e32 vcc, 0, v16
	v_bfe_i32 v17, v13, 4, 1
	v_or_b32_e32 v15, 63, v0
	v_lshrrev_b32_e32 v14, 6, v0
	s_waitcnt vmcnt(1)
	v_add_u32_e32 v18, v6, v5
	v_add3_u32 v8, v18, v7, v8
	s_nop 1
	v_mov_b32_dpp v18, v8 row_shr:1 row_mask:0xf bank_mask:0xf
	v_cndmask_b32_e32 v18, 0, v18, vcc
	v_add_u32_e32 v8, v18, v8
	v_cmp_lt_u32_e32 vcc, 1, v16
	s_nop 0
	v_mov_b32_dpp v18, v8 row_shr:2 row_mask:0xf bank_mask:0xf
	v_cndmask_b32_e32 v18, 0, v18, vcc
	v_add_u32_e32 v8, v8, v18
	v_cmp_lt_u32_e32 vcc, 3, v16
	;; [unrolled: 5-line block ×4, first 2 shown]
	s_nop 0
	v_mov_b32_dpp v16, v8 row_bcast:15 row_mask:0xf bank_mask:0xf
	v_and_b32_e32 v16, v17, v16
	v_add_u32_e32 v8, v8, v16
	s_nop 1
	v_mov_b32_dpp v16, v8 row_bcast:31 row_mask:0xf bank_mask:0xf
	v_cndmask_b32_e32 v16, 0, v16, vcc
	v_add_u32_e32 v8, v8, v16
	v_cmp_eq_u32_e32 vcc, v0, v15
	s_and_saveexec_b64 s[0:1], vcc
; %bb.1:
	v_lshlrev_b32_e32 v15, 2, v14
	ds_write_b32 v15, v8
; %bb.2:
	s_or_b64 exec, exec, s[0:1]
	v_cmp_gt_u32_e32 vcc, 4, v0
	s_waitcnt vmcnt(0) lgkmcnt(0)
	s_barrier
	s_and_saveexec_b64 s[0:1], vcc
	s_cbranch_execz .LBB20_4
; %bb.3:
	ds_read_b32 v15, v12
	v_and_b32_e32 v16, 3, v13
	v_cmp_ne_u32_e32 vcc, 0, v16
	s_waitcnt lgkmcnt(0)
	v_mov_b32_dpp v17, v15 row_shr:1 row_mask:0xf bank_mask:0xf
	v_cndmask_b32_e32 v17, 0, v17, vcc
	v_add_u32_e32 v15, v17, v15
	v_cmp_lt_u32_e32 vcc, 1, v16
	s_nop 0
	v_mov_b32_dpp v17, v15 row_shr:2 row_mask:0xf bank_mask:0xf
	v_cndmask_b32_e32 v16, 0, v17, vcc
	v_add_u32_e32 v15, v15, v16
	ds_write_b32 v12, v15
.LBB20_4:
	s_or_b64 exec, exec, s[0:1]
	v_cmp_lt_u32_e32 vcc, 63, v0
	v_mov_b32_e32 v15, 0
	v_mov_b32_e32 v16, 0
	s_waitcnt lgkmcnt(0)
	s_barrier
	s_and_saveexec_b64 s[0:1], vcc
; %bb.5:
	v_lshl_add_u32 v14, v14, 2, -4
	ds_read_b32 v16, v14
; %bb.6:
	s_or_b64 exec, exec, s[0:1]
	v_subrev_co_u32_e32 v14, vcc, 1, v13
	v_and_b32_e32 v17, 64, v13
	v_cmp_lt_i32_e64 s[0:1], v14, v17
	v_cndmask_b32_e64 v13, v14, v13, s[0:1]
	s_waitcnt lgkmcnt(0)
	v_add_u32_e32 v8, v16, v8
	v_lshlrev_b32_e32 v13, 2, v13
	ds_bpermute_b32 v8, v13, v8
	ds_read_b32 v15, v15 offset:12
	s_mov_b32 s6, 0
	s_waitcnt lgkmcnt(0)
	s_barrier
	v_cndmask_b32_e32 v8, v8, v16, vcc
	v_cmp_ne_u32_e32 vcc, 0, v0
	v_cndmask_b32_e32 v13, 0, v8, vcc
	v_add_u32_e32 v14, v13, v5
	v_cmp_eq_u32_e32 vcc, 0, v15
	v_add_u32_e32 v5, v14, v6
	v_readfirstlane_b32 s7, v15
	v_lshlrev_b32_e32 v0, 2, v12
	s_and_b64 vcc, exec, vcc
	v_add_u32_e32 v6, v5, v7
	v_or_b32_e32 v7, 0x1000, v0
	ds_write2_b64 v0, v[1:2], v[3:4] offset1:1
	ds_write2_b64 v7, v[13:14], v[5:6] offset1:1
	s_waitcnt lgkmcnt(0)
	s_barrier
	s_cbranch_vccnz .LBB20_35
; %bb.7:
	s_load_dwordx2 s[0:1], s[4:5], 0x10
	v_mov_b32_e32 v0, 0
	ds_read_b32 v2, v0 offset:6144
	v_or_b32_e32 v3, 1, v9
	v_or_b32_e32 v4, 2, v9
	s_waitcnt lgkmcnt(0)
	v_mov_b32_e32 v0, s1
	v_add_co_u32_e32 v1, vcc, s0, v10
	v_addc_co_u32_e32 v6, vcc, v0, v11, vcc
	v_add_co_u32_e32 v0, vcc, 8, v1
	v_or_b32_e32 v5, 3, v9
	v_addc_co_u32_e32 v1, vcc, 0, v6, vcc
	v_mov_b32_e32 v6, 0x201
	v_mov_b32_e32 v7, 0x400
	;; [unrolled: 1-line block ×5, first 2 shown]
	s_movk_i32 s4, 0x3ff
	s_mov_b32 s5, s7
	s_branch .LBB20_9
.LBB20_8:                               ;   in Loop: Header=BB20_9 Depth=1
	s_or_b64 exec, exec, s[0:1]
	s_addk_i32 s6, 0x400
	s_addk_i32 s5, 0xfc00
	v_add_co_u32_e32 v0, vcc, 0x1000, v0
	s_cmp_lt_u32 s6, s7
	v_addc_co_u32_e32 v1, vcc, 0, v1, vcc
	s_cbranch_scc0 .LBB20_35
.LBB20_9:                               ; =>This Inner Loop Header: Depth=1
	s_waitcnt lgkmcnt(0)
	v_add_u32_e32 v13, s6, v12
	v_cmp_lt_u32_e32 vcc, v13, v2
	v_cndmask_b32_e32 v15, v10, v11, vcc
	v_lshlrev_b32_e32 v16, 2, v15
	ds_read_b32 v16, v16 offset:4096
	v_cndmask_b32_e64 v14, v6, 0, vcc
	v_cndmask_b32_e32 v17, v7, v8, vcc
	v_or_b32_e32 v18, 1, v15
	s_waitcnt lgkmcnt(0)
	v_cmp_lt_u32_e32 vcc, v13, v16
	v_cndmask_b32_e32 v14, v18, v14, vcc
	v_cndmask_b32_e32 v15, v17, v15, vcc
	v_sub_u32_e32 v16, v15, v14
	v_lshrrev_b16_e32 v17, 15, v16
	v_add_u16_e32 v16, v16, v17
	v_ashrrev_i16_e32 v16, 1, v16
	v_add_u32_sdwa v16, v14, sext(v16) dst_sel:DWORD dst_unused:UNUSED_PAD src0_sel:DWORD src1_sel:WORD_0
	v_min_i32_e32 v16, 0x3ff, v16
	v_lshlrev_b32_e32 v17, 2, v16
	ds_read_b32 v17, v17 offset:4096
	v_add_u32_e32 v18, 1, v16
	s_waitcnt lgkmcnt(0)
	v_cmp_lt_u32_e32 vcc, v13, v17
	v_cndmask_b32_e32 v14, v18, v14, vcc
	v_cndmask_b32_e32 v15, v15, v16, vcc
	v_sub_u32_e32 v16, v15, v14
	v_lshrrev_b16_e32 v17, 15, v16
	v_add_u16_e32 v16, v16, v17
	v_ashrrev_i16_e32 v16, 1, v16
	v_add_u32_sdwa v16, v14, sext(v16) dst_sel:DWORD dst_unused:UNUSED_PAD src0_sel:DWORD src1_sel:WORD_0
	v_min_i32_e32 v16, 0x3ff, v16
	v_lshlrev_b32_e32 v17, 2, v16
	ds_read_b32 v17, v17 offset:4096
	v_add_u32_e32 v18, 1, v16
	;; [unrolled: 13-line block ×9, first 2 shown]
	s_waitcnt lgkmcnt(0)
	v_cmp_lt_u32_e32 vcc, v13, v16
	v_cndmask_b32_e32 v17, v15, v14, vcc
	v_add_u32_e32 v16, -1, v17
	v_cmp_ne_u32_e32 vcc, s4, v16
                                        ; implicit-def: $vgpr15
	s_and_saveexec_b64 s[0:1], vcc
	s_xor_b64 s[0:1], exec, s[0:1]
; %bb.10:                               ;   in Loop: Header=BB20_9 Depth=1
	v_lshlrev_b32_e32 v14, 2, v17
	ds_read_b32 v15, v14 offset:4096
; %bb.11:                               ;   in Loop: Header=BB20_9 Depth=1
	s_andn2_saveexec_b64 s[0:1], s[0:1]
	s_cbranch_execz .LBB20_13
; %bb.12:                               ;   in Loop: Header=BB20_9 Depth=1
	s_waitcnt lgkmcnt(0)
	v_add_u32_e32 v15, 4, v13
.LBB20_13:                              ;   in Loop: Header=BB20_9 Depth=1
	s_or_b64 exec, exec, s[0:1]
	v_lshlrev_b32_e32 v14, 2, v16
	ds_read_b32 v14, v14
	s_waitcnt lgkmcnt(1)
	v_add_u32_e32 v18, -1, v15
	v_cmp_eq_u32_e32 vcc, v13, v18
	s_waitcnt lgkmcnt(0)
	v_mov_b32_e32 v15, v14
	s_and_saveexec_b64 s[0:1], vcc
	s_cbranch_execz .LBB20_19
; %bb.14:                               ;   in Loop: Header=BB20_9 Depth=1
	v_cmp_ne_u32_e32 vcc, s4, v17
	v_lshlrev_b32_e32 v15, 2, v17
                                        ; implicit-def: $vgpr16
	s_and_saveexec_b64 s[2:3], vcc
	s_xor_b64 s[2:3], exec, s[2:3]
; %bb.15:                               ;   in Loop: Header=BB20_9 Depth=1
	ds_read_b32 v16, v15 offset:4100
; %bb.16:                               ;   in Loop: Header=BB20_9 Depth=1
	s_andn2_saveexec_b64 s[2:3], s[2:3]
	s_cbranch_execz .LBB20_18
; %bb.17:                               ;   in Loop: Header=BB20_9 Depth=1
	s_waitcnt lgkmcnt(0)
	v_add_u32_e32 v16, 4, v13
.LBB20_18:                              ;   in Loop: Header=BB20_9 Depth=1
	s_or_b64 exec, exec, s[2:3]
	ds_read_b32 v15, v15
	s_waitcnt lgkmcnt(1)
	v_add_u32_e32 v18, -1, v16
	v_mov_b32_e32 v16, v17
.LBB20_19:                              ;   in Loop: Header=BB20_9 Depth=1
	s_or_b64 exec, exec, s[0:1]
	v_add_u32_e32 v17, 1, v13
	v_cmp_eq_u32_e32 vcc, v17, v18
	s_waitcnt lgkmcnt(0)
	v_mov_b32_e32 v17, v15
	s_and_saveexec_b64 s[0:1], vcc
	s_cbranch_execz .LBB20_25
; %bb.20:                               ;   in Loop: Header=BB20_9 Depth=1
	v_add_u32_e32 v19, 1, v16
	v_cmp_ne_u32_e32 vcc, s4, v19
	v_lshlrev_b32_e32 v16, 2, v16
                                        ; implicit-def: $vgpr18
	s_and_saveexec_b64 s[2:3], vcc
	s_xor_b64 s[2:3], exec, s[2:3]
; %bb.21:                               ;   in Loop: Header=BB20_9 Depth=1
	ds_read_b32 v18, v16 offset:4104
; %bb.22:                               ;   in Loop: Header=BB20_9 Depth=1
	s_andn2_saveexec_b64 s[2:3], s[2:3]
	s_cbranch_execz .LBB20_24
; %bb.23:                               ;   in Loop: Header=BB20_9 Depth=1
	s_waitcnt lgkmcnt(0)
	v_add_u32_e32 v18, 5, v13
.LBB20_24:                              ;   in Loop: Header=BB20_9 Depth=1
	s_or_b64 exec, exec, s[2:3]
	ds_read_b32 v17, v16 offset:4
	s_waitcnt lgkmcnt(1)
	v_add_u32_e32 v18, -1, v18
	v_mov_b32_e32 v16, v19
.LBB20_25:                              ;   in Loop: Header=BB20_9 Depth=1
	s_or_b64 exec, exec, s[0:1]
	v_add_u32_e32 v13, 2, v13
	v_cmp_eq_u32_e32 vcc, v13, v18
	s_waitcnt lgkmcnt(0)
	v_mov_b32_e32 v13, v17
	s_and_saveexec_b64 s[0:1], vcc
; %bb.26:                               ;   in Loop: Header=BB20_9 Depth=1
	v_lshlrev_b32_e32 v13, 2, v16
	ds_read_b32 v13, v13 offset:4
; %bb.27:                               ;   in Loop: Header=BB20_9 Depth=1
	s_or_b64 exec, exec, s[0:1]
	s_min_u32 s2, s5, 0x400
	v_cmp_gt_u32_e32 vcc, s2, v9
	s_and_saveexec_b64 s[0:1], vcc
	s_cbranch_execnz .LBB20_31
; %bb.28:                               ;   in Loop: Header=BB20_9 Depth=1
	s_or_b64 exec, exec, s[0:1]
	v_cmp_gt_u32_e32 vcc, s2, v3
	s_and_saveexec_b64 s[0:1], vcc
	s_cbranch_execnz .LBB20_32
.LBB20_29:                              ;   in Loop: Header=BB20_9 Depth=1
	s_or_b64 exec, exec, s[0:1]
	v_cmp_gt_u32_e32 vcc, s2, v4
	s_and_saveexec_b64 s[0:1], vcc
	s_cbranch_execnz .LBB20_33
.LBB20_30:                              ;   in Loop: Header=BB20_9 Depth=1
	s_or_b64 exec, exec, s[0:1]
	v_cmp_gt_u32_e32 vcc, s2, v5
	s_and_saveexec_b64 s[0:1], vcc
	s_cbranch_execz .LBB20_8
	s_branch .LBB20_34
.LBB20_31:                              ;   in Loop: Header=BB20_9 Depth=1
	global_store_dword v[0:1], v14, off offset:-8
	s_or_b64 exec, exec, s[0:1]
	v_cmp_gt_u32_e32 vcc, s2, v3
	s_and_saveexec_b64 s[0:1], vcc
	s_cbranch_execz .LBB20_29
.LBB20_32:                              ;   in Loop: Header=BB20_9 Depth=1
	global_store_dword v[0:1], v15, off offset:-4
	s_or_b64 exec, exec, s[0:1]
	v_cmp_gt_u32_e32 vcc, s2, v4
	s_and_saveexec_b64 s[0:1], vcc
	s_cbranch_execz .LBB20_30
.LBB20_33:                              ;   in Loop: Header=BB20_9 Depth=1
	global_store_dword v[0:1], v17, off
	s_or_b64 exec, exec, s[0:1]
	v_cmp_gt_u32_e32 vcc, s2, v5
	s_and_saveexec_b64 s[0:1], vcc
	s_cbranch_execz .LBB20_8
.LBB20_34:                              ;   in Loop: Header=BB20_9 Depth=1
	s_waitcnt lgkmcnt(0)
	global_store_dword v[0:1], v13, off offset:4
	s_branch .LBB20_8
.LBB20_35:
	s_endpgm
	.section	.rodata,"a",@progbits
	.p2align	6, 0x0
	.amdhsa_kernel _Z30block_run_length_decode_kernelIfiLj256ELj4ELj4EEvPKT_PKT0_PS0_
		.amdhsa_group_segment_fixed_size 8192
		.amdhsa_private_segment_fixed_size 0
		.amdhsa_kernarg_size 24
		.amdhsa_user_sgpr_count 6
		.amdhsa_user_sgpr_private_segment_buffer 1
		.amdhsa_user_sgpr_dispatch_ptr 0
		.amdhsa_user_sgpr_queue_ptr 0
		.amdhsa_user_sgpr_kernarg_segment_ptr 1
		.amdhsa_user_sgpr_dispatch_id 0
		.amdhsa_user_sgpr_flat_scratch_init 0
		.amdhsa_user_sgpr_private_segment_size 0
		.amdhsa_uses_dynamic_stack 0
		.amdhsa_system_sgpr_private_segment_wavefront_offset 0
		.amdhsa_system_sgpr_workgroup_id_x 1
		.amdhsa_system_sgpr_workgroup_id_y 0
		.amdhsa_system_sgpr_workgroup_id_z 0
		.amdhsa_system_sgpr_workgroup_info 0
		.amdhsa_system_vgpr_workitem_id 0
		.amdhsa_next_free_vgpr 29
		.amdhsa_next_free_sgpr 61
		.amdhsa_reserve_vcc 1
		.amdhsa_reserve_flat_scratch 0
		.amdhsa_float_round_mode_32 0
		.amdhsa_float_round_mode_16_64 0
		.amdhsa_float_denorm_mode_32 3
		.amdhsa_float_denorm_mode_16_64 3
		.amdhsa_dx10_clamp 1
		.amdhsa_ieee_mode 1
		.amdhsa_fp16_overflow 0
		.amdhsa_exception_fp_ieee_invalid_op 0
		.amdhsa_exception_fp_denorm_src 0
		.amdhsa_exception_fp_ieee_div_zero 0
		.amdhsa_exception_fp_ieee_overflow 0
		.amdhsa_exception_fp_ieee_underflow 0
		.amdhsa_exception_fp_ieee_inexact 0
		.amdhsa_exception_int_div_zero 0
	.end_amdhsa_kernel
	.section	.text._Z30block_run_length_decode_kernelIfiLj256ELj4ELj4EEvPKT_PKT0_PS0_,"axG",@progbits,_Z30block_run_length_decode_kernelIfiLj256ELj4ELj4EEvPKT_PKT0_PS0_,comdat
.Lfunc_end20:
	.size	_Z30block_run_length_decode_kernelIfiLj256ELj4ELj4EEvPKT_PKT0_PS0_, .Lfunc_end20-_Z30block_run_length_decode_kernelIfiLj256ELj4ELj4EEvPKT_PKT0_PS0_
                                        ; -- End function
	.set _Z30block_run_length_decode_kernelIfiLj256ELj4ELj4EEvPKT_PKT0_PS0_.num_vgpr, 20
	.set _Z30block_run_length_decode_kernelIfiLj256ELj4ELj4EEvPKT_PKT0_PS0_.num_agpr, 0
	.set _Z30block_run_length_decode_kernelIfiLj256ELj4ELj4EEvPKT_PKT0_PS0_.numbered_sgpr, 8
	.set _Z30block_run_length_decode_kernelIfiLj256ELj4ELj4EEvPKT_PKT0_PS0_.num_named_barrier, 0
	.set _Z30block_run_length_decode_kernelIfiLj256ELj4ELj4EEvPKT_PKT0_PS0_.private_seg_size, 0
	.set _Z30block_run_length_decode_kernelIfiLj256ELj4ELj4EEvPKT_PKT0_PS0_.uses_vcc, 1
	.set _Z30block_run_length_decode_kernelIfiLj256ELj4ELj4EEvPKT_PKT0_PS0_.uses_flat_scratch, 0
	.set _Z30block_run_length_decode_kernelIfiLj256ELj4ELj4EEvPKT_PKT0_PS0_.has_dyn_sized_stack, 0
	.set _Z30block_run_length_decode_kernelIfiLj256ELj4ELj4EEvPKT_PKT0_PS0_.has_recursion, 0
	.set _Z30block_run_length_decode_kernelIfiLj256ELj4ELj4EEvPKT_PKT0_PS0_.has_indirect_call, 0
	.section	.AMDGPU.csdata,"",@progbits
; Kernel info:
; codeLenInByte = 1792
; TotalNumSgprs: 12
; NumVgprs: 20
; ScratchSize: 0
; MemoryBound: 0
; FloatMode: 240
; IeeeMode: 1
; LDSByteSize: 8192 bytes/workgroup (compile time only)
; SGPRBlocks: 8
; VGPRBlocks: 7
; NumSGPRsForWavesPerEU: 65
; NumVGPRsForWavesPerEU: 29
; Occupancy: 8
; WaveLimiterHint : 0
; COMPUTE_PGM_RSRC2:SCRATCH_EN: 0
; COMPUTE_PGM_RSRC2:USER_SGPR: 6
; COMPUTE_PGM_RSRC2:TRAP_HANDLER: 0
; COMPUTE_PGM_RSRC2:TGID_X_EN: 1
; COMPUTE_PGM_RSRC2:TGID_Y_EN: 0
; COMPUTE_PGM_RSRC2:TGID_Z_EN: 0
; COMPUTE_PGM_RSRC2:TIDIG_COMP_CNT: 0
	.section	.text._Z30block_run_length_decode_kernelIcxLj256ELj4ELj4EEvPKT_PKT0_PS0_,"axG",@progbits,_Z30block_run_length_decode_kernelIcxLj256ELj4ELj4EEvPKT_PKT0_PS0_,comdat
	.protected	_Z30block_run_length_decode_kernelIcxLj256ELj4ELj4EEvPKT_PKT0_PS0_ ; -- Begin function _Z30block_run_length_decode_kernelIcxLj256ELj4ELj4EEvPKT_PKT0_PS0_
	.globl	_Z30block_run_length_decode_kernelIcxLj256ELj4ELj4EEvPKT_PKT0_PS0_
	.p2align	8
	.type	_Z30block_run_length_decode_kernelIcxLj256ELj4ELj4EEvPKT_PKT0_PS0_,@function
_Z30block_run_length_decode_kernelIcxLj256ELj4ELj4EEvPKT_PKT0_PS0_: ; @_Z30block_run_length_decode_kernelIcxLj256ELj4ELj4EEvPKT_PKT0_PS0_
; %bb.0:
	s_load_dwordx4 s[0:3], s[4:5], 0x0
	v_lshlrev_b32_e32 v11, 2, v0
	v_lshl_or_b32 v9, s6, 10, v11
	v_mov_b32_e32 v10, 0
	v_lshlrev_b64 v[1:2], 3, v[9:10]
	s_waitcnt lgkmcnt(0)
	v_mov_b32_e32 v3, s3
	v_add_co_u32_e32 v12, vcc, s2, v1
	v_addc_co_u32_e32 v13, vcc, v3, v2, vcc
	global_load_dwordx4 v[5:8], v[12:13], off
	global_load_dwordx4 v[1:4], v[12:13], off offset:16
	global_load_dword v2, v9, s[0:1]
	s_waitcnt vmcnt(1)
	v_mbcnt_lo_u32_b32 v4, -1, 0
                                        ; kill: killed $vgpr12 killed $vgpr13
	v_mbcnt_hi_u32_b32 v4, -1, v4
	v_and_b32_e32 v10, 15, v4
	v_cmp_ne_u32_e32 vcc, 0, v10
	v_bfe_i32 v12, v4, 4, 1
	v_or_b32_e32 v8, 63, v0
	v_lshrrev_b32_e32 v6, 6, v0
                                        ; kill: killed $sgpr0_sgpr1
	v_add_u32_e32 v13, v7, v5
	v_add3_u32 v3, v13, v1, v3
	s_nop 1
	v_mov_b32_dpp v13, v3 row_shr:1 row_mask:0xf bank_mask:0xf
	v_cndmask_b32_e32 v13, 0, v13, vcc
	v_add_u32_e32 v3, v13, v3
	v_cmp_lt_u32_e32 vcc, 1, v10
	s_nop 0
	v_mov_b32_dpp v13, v3 row_shr:2 row_mask:0xf bank_mask:0xf
	v_cndmask_b32_e32 v13, 0, v13, vcc
	v_add_u32_e32 v3, v3, v13
	v_cmp_lt_u32_e32 vcc, 3, v10
	;; [unrolled: 5-line block ×4, first 2 shown]
	s_nop 0
	v_mov_b32_dpp v10, v3 row_bcast:15 row_mask:0xf bank_mask:0xf
	v_and_b32_e32 v10, v12, v10
	v_add_u32_e32 v3, v3, v10
	s_nop 1
	v_mov_b32_dpp v10, v3 row_bcast:31 row_mask:0xf bank_mask:0xf
	v_cndmask_b32_e32 v10, 0, v10, vcc
	v_add_u32_e32 v3, v3, v10
	v_cmp_eq_u32_e32 vcc, v0, v8
	s_and_saveexec_b64 s[0:1], vcc
; %bb.1:
	v_lshlrev_b32_e32 v8, 2, v6
	ds_write_b32 v8, v3
; %bb.2:
	s_or_b64 exec, exec, s[0:1]
	v_cmp_gt_u32_e32 vcc, 4, v0
	s_waitcnt vmcnt(0) lgkmcnt(0)
	s_barrier
	s_and_saveexec_b64 s[0:1], vcc
	s_cbranch_execz .LBB21_4
; %bb.3:
	ds_read_b32 v8, v11
	v_and_b32_e32 v10, 3, v4
	v_cmp_ne_u32_e32 vcc, 0, v10
	s_waitcnt lgkmcnt(0)
	v_mov_b32_dpp v12, v8 row_shr:1 row_mask:0xf bank_mask:0xf
	v_cndmask_b32_e32 v12, 0, v12, vcc
	v_add_u32_e32 v8, v12, v8
	v_cmp_lt_u32_e32 vcc, 1, v10
	s_nop 0
	v_mov_b32_dpp v12, v8 row_shr:2 row_mask:0xf bank_mask:0xf
	v_cndmask_b32_e32 v10, 0, v12, vcc
	v_add_u32_e32 v8, v8, v10
	ds_write_b32 v11, v8
.LBB21_4:
	s_or_b64 exec, exec, s[0:1]
	v_cmp_lt_u32_e32 vcc, 63, v0
	v_mov_b32_e32 v8, 0
	v_mov_b32_e32 v10, 0
	s_waitcnt lgkmcnt(0)
	s_barrier
	s_and_saveexec_b64 s[0:1], vcc
; %bb.5:
	v_lshl_add_u32 v6, v6, 2, -4
	ds_read_b32 v10, v6
; %bb.6:
	s_or_b64 exec, exec, s[0:1]
	v_subrev_co_u32_e32 v6, vcc, 1, v4
	v_and_b32_e32 v12, 64, v4
	v_cmp_lt_i32_e64 s[0:1], v6, v12
	v_cndmask_b32_e64 v4, v6, v4, s[0:1]
	s_waitcnt lgkmcnt(0)
	v_add_u32_e32 v3, v10, v3
	v_lshlrev_b32_e32 v4, 2, v4
	ds_bpermute_b32 v3, v4, v3
	ds_read_b32 v6, v8 offset:12
	s_waitcnt lgkmcnt(0)
	s_barrier
	v_cndmask_b32_e32 v3, v3, v10, vcc
	v_cmp_ne_u32_e32 vcc, 0, v0
	v_cndmask_b32_e32 v3, 0, v3, vcc
	v_add_u32_e32 v4, v3, v5
	v_cmp_eq_u32_e32 vcc, 0, v6
	v_add_u32_e32 v5, v4, v7
	v_readfirstlane_b32 s6, v6
	v_mad_u32_u24 v0, v0, 12, v11
	s_and_b64 vcc, exec, vcc
	v_add_u32_e32 v1, v5, v1
	ds_write_b64 v0, v[3:4] offset:1024
	ds_write_b32 v0, v5 offset:1032
	ds_write_b32 v11, v2
	ds_write_b32 v0, v1 offset:1036
	s_waitcnt lgkmcnt(0)
	s_barrier
	s_cbranch_vccnz .LBB21_35
; %bb.7:
	s_load_dwordx2 s[0:1], s[4:5], 0x10
	v_or_b32_e32 v2, 1, v9
	v_or_b32_e32 v5, 2, v9
	;; [unrolled: 1-line block ×3, first 2 shown]
	v_mov_b32_e32 v8, 0x201
	s_waitcnt lgkmcnt(0)
	v_mov_b32_e32 v0, s1
	v_add_co_u32_e32 v3, vcc, s0, v9
	v_addc_co_u32_e32 v4, vcc, 0, v0, vcc
	v_mov_b32_e32 v0, 0
	ds_read_b32 v7, v0 offset:3072
	s_mov_b64 s[0:1], 0
	v_mov_b32_e32 v10, 0x400
	v_mov_b32_e32 v12, 0x200
	;; [unrolled: 1-line block ×4, first 2 shown]
	s_movk_i32 s7, 0x3ff
	s_mov_b32 s8, s6
	s_branch .LBB21_9
.LBB21_8:                               ;   in Loop: Header=BB21_9 Depth=1
	s_or_b64 exec, exec, s[2:3]
	s_add_u32 s0, s0, 0x400
	s_addc_u32 s1, s1, 0
	s_addk_i32 s8, 0xfc00
	s_cmp_lt_u32 s0, s6
	s_cbranch_scc0 .LBB21_35
.LBB21_9:                               ; =>This Inner Loop Header: Depth=1
	v_add_co_u32_e32 v0, vcc, s0, v11
	s_waitcnt lgkmcnt(0)
	v_cmp_lt_u32_e32 vcc, v0, v7
	v_cndmask_b32_e32 v15, v13, v14, vcc
	v_lshlrev_b32_e32 v16, 2, v15
	ds_read_b32 v16, v16 offset:1024
	v_cndmask_b32_e64 v1, v8, 0, vcc
	v_cndmask_b32_e32 v17, v10, v12, vcc
	v_or_b32_e32 v18, 1, v15
	s_waitcnt lgkmcnt(0)
	v_cmp_lt_u32_e32 vcc, v0, v16
	v_cndmask_b32_e32 v1, v18, v1, vcc
	v_cndmask_b32_e32 v15, v17, v15, vcc
	v_sub_u32_e32 v16, v15, v1
	v_lshrrev_b16_e32 v17, 15, v16
	v_add_u16_e32 v16, v16, v17
	v_ashrrev_i16_e32 v16, 1, v16
	v_add_u32_sdwa v16, v1, sext(v16) dst_sel:DWORD dst_unused:UNUSED_PAD src0_sel:DWORD src1_sel:WORD_0
	v_min_i32_e32 v16, 0x3ff, v16
	v_lshlrev_b32_e32 v17, 2, v16
	ds_read_b32 v17, v17 offset:1024
	v_add_u32_e32 v18, 1, v16
	s_waitcnt lgkmcnt(0)
	v_cmp_lt_u32_e32 vcc, v0, v17
	v_cndmask_b32_e32 v1, v18, v1, vcc
	v_cndmask_b32_e32 v15, v15, v16, vcc
	v_sub_u32_e32 v16, v15, v1
	v_lshrrev_b16_e32 v17, 15, v16
	v_add_u16_e32 v16, v16, v17
	v_ashrrev_i16_e32 v16, 1, v16
	v_add_u32_sdwa v16, v1, sext(v16) dst_sel:DWORD dst_unused:UNUSED_PAD src0_sel:DWORD src1_sel:WORD_0
	v_min_i32_e32 v16, 0x3ff, v16
	v_lshlrev_b32_e32 v17, 2, v16
	ds_read_b32 v17, v17 offset:1024
	v_add_u32_e32 v18, 1, v16
	;; [unrolled: 13-line block ×9, first 2 shown]
	s_waitcnt lgkmcnt(0)
	v_cmp_lt_u32_e32 vcc, v0, v16
	v_cndmask_b32_e32 v17, v15, v1, vcc
	v_add_u32_e32 v1, -1, v17
	v_cmp_ne_u32_e32 vcc, s7, v1
                                        ; implicit-def: $vgpr16
	s_and_saveexec_b64 s[2:3], vcc
	s_xor_b64 s[2:3], exec, s[2:3]
; %bb.10:                               ;   in Loop: Header=BB21_9 Depth=1
	v_lshlrev_b32_e32 v15, 2, v17
	ds_read_b32 v16, v15 offset:1024
; %bb.11:                               ;   in Loop: Header=BB21_9 Depth=1
	s_andn2_saveexec_b64 s[2:3], s[2:3]
	s_cbranch_execz .LBB21_13
; %bb.12:                               ;   in Loop: Header=BB21_9 Depth=1
	s_waitcnt lgkmcnt(0)
	v_add_u32_e32 v16, 4, v0
.LBB21_13:                              ;   in Loop: Header=BB21_9 Depth=1
	s_or_b64 exec, exec, s[2:3]
	ds_read_u8 v15, v1
	s_waitcnt lgkmcnt(1)
	v_add_u32_e32 v18, -1, v16
	v_cmp_eq_u32_e32 vcc, v0, v18
	s_waitcnt lgkmcnt(0)
	v_mov_b32_e32 v16, v15
	s_and_saveexec_b64 s[2:3], vcc
	s_cbranch_execz .LBB21_19
; %bb.14:                               ;   in Loop: Header=BB21_9 Depth=1
	v_cmp_ne_u32_e32 vcc, s7, v17
                                        ; implicit-def: $vgpr1
	s_and_saveexec_b64 s[4:5], vcc
	s_xor_b64 s[4:5], exec, s[4:5]
; %bb.15:                               ;   in Loop: Header=BB21_9 Depth=1
	v_lshlrev_b32_e32 v1, 2, v17
	ds_read_b32 v1, v1 offset:1028
; %bb.16:                               ;   in Loop: Header=BB21_9 Depth=1
	s_andn2_saveexec_b64 s[4:5], s[4:5]
	s_cbranch_execz .LBB21_18
; %bb.17:                               ;   in Loop: Header=BB21_9 Depth=1
	s_waitcnt lgkmcnt(0)
	v_add_u32_e32 v1, 4, v0
.LBB21_18:                              ;   in Loop: Header=BB21_9 Depth=1
	s_or_b64 exec, exec, s[4:5]
	ds_read_u8 v16, v17
	s_waitcnt lgkmcnt(1)
	v_add_u32_e32 v18, -1, v1
	v_mov_b32_e32 v1, v17
.LBB21_19:                              ;   in Loop: Header=BB21_9 Depth=1
	s_or_b64 exec, exec, s[2:3]
	v_add_u32_e32 v17, 1, v0
	v_cmp_eq_u32_e32 vcc, v17, v18
	s_waitcnt lgkmcnt(0)
	v_mov_b32_e32 v17, v16
	s_and_saveexec_b64 s[2:3], vcc
	s_cbranch_execz .LBB21_25
; %bb.20:                               ;   in Loop: Header=BB21_9 Depth=1
	v_add_u32_e32 v19, 1, v1
	v_cmp_ne_u32_e32 vcc, s7, v19
                                        ; implicit-def: $vgpr18
	s_and_saveexec_b64 s[4:5], vcc
	s_xor_b64 s[4:5], exec, s[4:5]
; %bb.21:                               ;   in Loop: Header=BB21_9 Depth=1
	v_lshlrev_b32_e32 v17, 2, v1
	ds_read_b32 v18, v17 offset:1032
; %bb.22:                               ;   in Loop: Header=BB21_9 Depth=1
	s_andn2_saveexec_b64 s[4:5], s[4:5]
	s_cbranch_execz .LBB21_24
; %bb.23:                               ;   in Loop: Header=BB21_9 Depth=1
	s_waitcnt lgkmcnt(0)
	v_add_u32_e32 v18, 5, v0
.LBB21_24:                              ;   in Loop: Header=BB21_9 Depth=1
	s_or_b64 exec, exec, s[4:5]
	ds_read_u8 v17, v1 offset:1
	s_waitcnt lgkmcnt(1)
	v_add_u32_e32 v18, -1, v18
	v_mov_b32_e32 v1, v19
.LBB21_25:                              ;   in Loop: Header=BB21_9 Depth=1
	s_or_b64 exec, exec, s[2:3]
	v_add_u32_e32 v0, 2, v0
	v_cmp_eq_u32_e32 vcc, v0, v18
	s_waitcnt lgkmcnt(0)
	v_mov_b32_e32 v18, v17
	s_and_saveexec_b64 s[2:3], vcc
; %bb.26:                               ;   in Loop: Header=BB21_9 Depth=1
	ds_read_u8 v18, v1 offset:1
; %bb.27:                               ;   in Loop: Header=BB21_9 Depth=1
	s_or_b64 exec, exec, s[2:3]
	v_mov_b32_e32 v1, s1
	v_add_co_u32_e32 v0, vcc, s0, v3
	s_min_u32 s4, s8, 0x400
	v_addc_co_u32_e32 v1, vcc, v4, v1, vcc
	v_cmp_gt_u32_e32 vcc, s4, v9
	s_and_saveexec_b64 s[2:3], vcc
	s_cbranch_execnz .LBB21_31
; %bb.28:                               ;   in Loop: Header=BB21_9 Depth=1
	s_or_b64 exec, exec, s[2:3]
	v_cmp_gt_u32_e32 vcc, s4, v2
	s_and_saveexec_b64 s[2:3], vcc
	s_cbranch_execnz .LBB21_32
.LBB21_29:                              ;   in Loop: Header=BB21_9 Depth=1
	s_or_b64 exec, exec, s[2:3]
	v_cmp_gt_u32_e32 vcc, s4, v5
	s_and_saveexec_b64 s[2:3], vcc
	s_cbranch_execnz .LBB21_33
.LBB21_30:                              ;   in Loop: Header=BB21_9 Depth=1
	s_or_b64 exec, exec, s[2:3]
	v_cmp_gt_u32_e32 vcc, s4, v6
	s_and_saveexec_b64 s[2:3], vcc
	s_cbranch_execz .LBB21_8
	s_branch .LBB21_34
.LBB21_31:                              ;   in Loop: Header=BB21_9 Depth=1
	global_store_byte v[0:1], v15, off
	s_or_b64 exec, exec, s[2:3]
	v_cmp_gt_u32_e32 vcc, s4, v2
	s_and_saveexec_b64 s[2:3], vcc
	s_cbranch_execz .LBB21_29
.LBB21_32:                              ;   in Loop: Header=BB21_9 Depth=1
	global_store_byte v[0:1], v16, off offset:1
	s_or_b64 exec, exec, s[2:3]
	v_cmp_gt_u32_e32 vcc, s4, v5
	s_and_saveexec_b64 s[2:3], vcc
	s_cbranch_execz .LBB21_30
.LBB21_33:                              ;   in Loop: Header=BB21_9 Depth=1
	global_store_byte v[0:1], v17, off offset:2
	s_or_b64 exec, exec, s[2:3]
	v_cmp_gt_u32_e32 vcc, s4, v6
	s_and_saveexec_b64 s[2:3], vcc
	s_cbranch_execz .LBB21_8
.LBB21_34:                              ;   in Loop: Header=BB21_9 Depth=1
	s_waitcnt lgkmcnt(0)
	global_store_byte v[0:1], v18, off offset:3
	s_branch .LBB21_8
.LBB21_35:
	s_endpgm
	.section	.rodata,"a",@progbits
	.p2align	6, 0x0
	.amdhsa_kernel _Z30block_run_length_decode_kernelIcxLj256ELj4ELj4EEvPKT_PKT0_PS0_
		.amdhsa_group_segment_fixed_size 5120
		.amdhsa_private_segment_fixed_size 0
		.amdhsa_kernarg_size 24
		.amdhsa_user_sgpr_count 6
		.amdhsa_user_sgpr_private_segment_buffer 1
		.amdhsa_user_sgpr_dispatch_ptr 0
		.amdhsa_user_sgpr_queue_ptr 0
		.amdhsa_user_sgpr_kernarg_segment_ptr 1
		.amdhsa_user_sgpr_dispatch_id 0
		.amdhsa_user_sgpr_flat_scratch_init 0
		.amdhsa_user_sgpr_private_segment_size 0
		.amdhsa_uses_dynamic_stack 0
		.amdhsa_system_sgpr_private_segment_wavefront_offset 0
		.amdhsa_system_sgpr_workgroup_id_x 1
		.amdhsa_system_sgpr_workgroup_id_y 0
		.amdhsa_system_sgpr_workgroup_id_z 0
		.amdhsa_system_sgpr_workgroup_info 0
		.amdhsa_system_vgpr_workitem_id 0
		.amdhsa_next_free_vgpr 20
		.amdhsa_next_free_sgpr 9
		.amdhsa_reserve_vcc 1
		.amdhsa_reserve_flat_scratch 0
		.amdhsa_float_round_mode_32 0
		.amdhsa_float_round_mode_16_64 0
		.amdhsa_float_denorm_mode_32 3
		.amdhsa_float_denorm_mode_16_64 3
		.amdhsa_dx10_clamp 1
		.amdhsa_ieee_mode 1
		.amdhsa_fp16_overflow 0
		.amdhsa_exception_fp_ieee_invalid_op 0
		.amdhsa_exception_fp_denorm_src 0
		.amdhsa_exception_fp_ieee_div_zero 0
		.amdhsa_exception_fp_ieee_overflow 0
		.amdhsa_exception_fp_ieee_underflow 0
		.amdhsa_exception_fp_ieee_inexact 0
		.amdhsa_exception_int_div_zero 0
	.end_amdhsa_kernel
	.section	.text._Z30block_run_length_decode_kernelIcxLj256ELj4ELj4EEvPKT_PKT0_PS0_,"axG",@progbits,_Z30block_run_length_decode_kernelIcxLj256ELj4ELj4EEvPKT_PKT0_PS0_,comdat
.Lfunc_end21:
	.size	_Z30block_run_length_decode_kernelIcxLj256ELj4ELj4EEvPKT_PKT0_PS0_, .Lfunc_end21-_Z30block_run_length_decode_kernelIcxLj256ELj4ELj4EEvPKT_PKT0_PS0_
                                        ; -- End function
	.set _Z30block_run_length_decode_kernelIcxLj256ELj4ELj4EEvPKT_PKT0_PS0_.num_vgpr, 20
	.set _Z30block_run_length_decode_kernelIcxLj256ELj4ELj4EEvPKT_PKT0_PS0_.num_agpr, 0
	.set _Z30block_run_length_decode_kernelIcxLj256ELj4ELj4EEvPKT_PKT0_PS0_.numbered_sgpr, 9
	.set _Z30block_run_length_decode_kernelIcxLj256ELj4ELj4EEvPKT_PKT0_PS0_.num_named_barrier, 0
	.set _Z30block_run_length_decode_kernelIcxLj256ELj4ELj4EEvPKT_PKT0_PS0_.private_seg_size, 0
	.set _Z30block_run_length_decode_kernelIcxLj256ELj4ELj4EEvPKT_PKT0_PS0_.uses_vcc, 1
	.set _Z30block_run_length_decode_kernelIcxLj256ELj4ELj4EEvPKT_PKT0_PS0_.uses_flat_scratch, 0
	.set _Z30block_run_length_decode_kernelIcxLj256ELj4ELj4EEvPKT_PKT0_PS0_.has_dyn_sized_stack, 0
	.set _Z30block_run_length_decode_kernelIcxLj256ELj4ELj4EEvPKT_PKT0_PS0_.has_recursion, 0
	.set _Z30block_run_length_decode_kernelIcxLj256ELj4ELj4EEvPKT_PKT0_PS0_.has_indirect_call, 0
	.section	.AMDGPU.csdata,"",@progbits
; Kernel info:
; codeLenInByte = 1792
; TotalNumSgprs: 13
; NumVgprs: 20
; ScratchSize: 0
; MemoryBound: 0
; FloatMode: 240
; IeeeMode: 1
; LDSByteSize: 5120 bytes/workgroup (compile time only)
; SGPRBlocks: 1
; VGPRBlocks: 4
; NumSGPRsForWavesPerEU: 13
; NumVGPRsForWavesPerEU: 20
; Occupancy: 10
; WaveLimiterHint : 0
; COMPUTE_PGM_RSRC2:SCRATCH_EN: 0
; COMPUTE_PGM_RSRC2:USER_SGPR: 6
; COMPUTE_PGM_RSRC2:TRAP_HANDLER: 0
; COMPUTE_PGM_RSRC2:TGID_X_EN: 1
; COMPUTE_PGM_RSRC2:TGID_Y_EN: 0
; COMPUTE_PGM_RSRC2:TGID_Z_EN: 0
; COMPUTE_PGM_RSRC2:TIDIG_COMP_CNT: 0
	.section	.text._Z30block_run_length_decode_kernelIdcLj256ELj4ELj4EEvPKT_PKT0_PS0_,"axG",@progbits,_Z30block_run_length_decode_kernelIdcLj256ELj4ELj4EEvPKT_PKT0_PS0_,comdat
	.protected	_Z30block_run_length_decode_kernelIdcLj256ELj4ELj4EEvPKT_PKT0_PS0_ ; -- Begin function _Z30block_run_length_decode_kernelIdcLj256ELj4ELj4EEvPKT_PKT0_PS0_
	.globl	_Z30block_run_length_decode_kernelIdcLj256ELj4ELj4EEvPKT_PKT0_PS0_
	.p2align	8
	.type	_Z30block_run_length_decode_kernelIdcLj256ELj4ELj4EEvPKT_PKT0_PS0_,@function
_Z30block_run_length_decode_kernelIdcLj256ELj4ELj4EEvPKT_PKT0_PS0_: ; @_Z30block_run_length_decode_kernelIdcLj256ELj4ELj4EEvPKT_PKT0_PS0_
; %bb.0:
	s_load_dwordx4 s[0:3], s[4:5], 0x0
	v_lshlrev_b32_e32 v12, 2, v0
	v_lshl_or_b32 v9, s6, 10, v12
	v_mov_b32_e32 v10, 0
	v_lshlrev_b64 v[10:11], 3, v[9:10]
	s_waitcnt lgkmcnt(0)
	global_load_dword v13, v9, s[2:3]
	v_mov_b32_e32 v1, s1
	v_add_co_u32_e32 v14, vcc, s0, v10
	v_addc_co_u32_e32 v15, vcc, v1, v11, vcc
	global_load_dwordx4 v[1:4], v[14:15], off offset:16
	global_load_dwordx4 v[5:8], v[14:15], off
	v_mbcnt_lo_u32_b32 v14, -1, 0
	v_mbcnt_hi_u32_b32 v14, -1, v14
	v_and_b32_e32 v17, 15, v14
	v_cmp_ne_u32_e32 vcc, 0, v17
	v_bfe_i32 v19, v14, 4, 1
	v_or_b32_e32 v18, 63, v0
	v_lshrrev_b32_e32 v16, 6, v0
	s_waitcnt vmcnt(2)
	v_bfe_i32 v15, v13, 16, 8
	v_ashrrev_i32_e32 v20, 24, v13
	v_add_u32_sdwa v21, sext(v13), sext(v13) dst_sel:DWORD dst_unused:UNUSED_PAD src0_sel:BYTE_1 src1_sel:BYTE_0
	v_add3_u32 v20, v21, v15, v20
	s_nop 1
	v_mov_b32_dpp v21, v20 row_shr:1 row_mask:0xf bank_mask:0xf
	v_cndmask_b32_e32 v21, 0, v21, vcc
	v_add_u32_e32 v20, v21, v20
	v_cmp_lt_u32_e32 vcc, 1, v17
	s_nop 0
	v_mov_b32_dpp v21, v20 row_shr:2 row_mask:0xf bank_mask:0xf
	v_cndmask_b32_e32 v21, 0, v21, vcc
	v_add_u32_e32 v20, v20, v21
	v_cmp_lt_u32_e32 vcc, 3, v17
	;; [unrolled: 5-line block ×4, first 2 shown]
	s_nop 0
	v_mov_b32_dpp v20, v17 row_bcast:15 row_mask:0xf bank_mask:0xf
	v_and_b32_e32 v19, v19, v20
	v_add_u32_e32 v17, v17, v19
	s_nop 1
	v_mov_b32_dpp v19, v17 row_bcast:31 row_mask:0xf bank_mask:0xf
	v_cndmask_b32_e32 v19, 0, v19, vcc
	v_add_u32_e32 v17, v17, v19
	v_cmp_eq_u32_e32 vcc, v0, v18
	s_and_saveexec_b64 s[0:1], vcc
; %bb.1:
	v_lshlrev_b32_e32 v18, 2, v16
	ds_write_b32 v18, v17
; %bb.2:
	s_or_b64 exec, exec, s[0:1]
	v_cmp_gt_u32_e32 vcc, 4, v0
	s_waitcnt vmcnt(0) lgkmcnt(0)
	s_barrier
	s_and_saveexec_b64 s[0:1], vcc
	s_cbranch_execz .LBB22_4
; %bb.3:
	ds_read_b32 v18, v12
	v_and_b32_e32 v19, 3, v14
	v_cmp_ne_u32_e32 vcc, 0, v19
	s_waitcnt lgkmcnt(0)
	v_mov_b32_dpp v20, v18 row_shr:1 row_mask:0xf bank_mask:0xf
	v_cndmask_b32_e32 v20, 0, v20, vcc
	v_add_u32_e32 v18, v20, v18
	v_cmp_lt_u32_e32 vcc, 1, v19
	s_nop 0
	v_mov_b32_dpp v20, v18 row_shr:2 row_mask:0xf bank_mask:0xf
	v_cndmask_b32_e32 v19, 0, v20, vcc
	v_add_u32_e32 v18, v18, v19
	ds_write_b32 v12, v18
.LBB22_4:
	s_or_b64 exec, exec, s[0:1]
	v_cmp_lt_u32_e32 vcc, 63, v0
	v_mov_b32_e32 v18, 0
	v_mov_b32_e32 v19, 0
	s_waitcnt lgkmcnt(0)
	s_barrier
	s_and_saveexec_b64 s[0:1], vcc
; %bb.5:
	v_lshl_add_u32 v16, v16, 2, -4
	ds_read_b32 v19, v16
; %bb.6:
	s_or_b64 exec, exec, s[0:1]
	s_waitcnt lgkmcnt(0)
	v_add_u32_e32 v16, v19, v17
	v_subrev_co_u32_e32 v17, vcc, 1, v14
	v_and_b32_e32 v20, 64, v14
	v_cmp_lt_i32_e64 s[0:1], v17, v20
	v_cndmask_b32_e64 v14, v17, v14, s[0:1]
	v_lshlrev_b32_e32 v14, 2, v14
	ds_bpermute_b32 v14, v14, v16
	ds_read_b32 v18, v18 offset:12
	s_mov_b32 s6, 0
	s_waitcnt lgkmcnt(0)
	s_barrier
	v_cndmask_b32_e32 v14, v14, v19, vcc
	v_cmp_ne_u32_e32 vcc, 0, v0
	v_cndmask_b32_e32 v16, 0, v14, vcc
	v_add_u32_sdwa v17, v16, sext(v13) dst_sel:DWORD dst_unused:UNUSED_PAD src0_sel:DWORD src1_sel:BYTE_0
	v_add_u32_sdwa v13, v17, sext(v13) dst_sel:DWORD dst_unused:UNUSED_PAD src0_sel:DWORD src1_sel:BYTE_1
	v_cmp_eq_u32_e32 vcc, 0, v18
	v_add_u32_e32 v14, v13, v15
	v_readfirstlane_b32 s7, v18
	v_lshlrev_b32_e32 v15, 3, v12
	v_lshlrev_b32_e32 v0, 4, v0
	s_and_b64 vcc, exec, vcc
	v_sub_u32_e32 v0, v15, v0
	ds_write2_b64 v15, v[5:6], v[7:8] offset1:1
	ds_write_b64 v0, v[16:17] offset:8192
	ds_write_b64 v15, v[1:2] offset:16
	ds_write_b32 v0, v13 offset:8200
	ds_write_b64 v15, v[3:4] offset:24
	ds_write_b32 v0, v14 offset:8204
	s_waitcnt lgkmcnt(0)
	s_barrier
	s_cbranch_vccnz .LBB22_35
; %bb.7:
	s_load_dwordx2 s[0:1], s[4:5], 0x10
	v_mov_b32_e32 v0, 0
	ds_read_b32 v8, v0 offset:10240
	v_or_b32_e32 v13, 1, v9
	v_or_b32_e32 v14, 2, v9
	s_waitcnt lgkmcnt(0)
	v_mov_b32_e32 v0, s1
	v_add_co_u32_e32 v1, vcc, s0, v10
	v_addc_co_u32_e32 v2, vcc, v0, v11, vcc
	v_add_co_u32_e32 v0, vcc, 16, v1
	v_or_b32_e32 v15, 3, v9
	v_addc_co_u32_e32 v1, vcc, 0, v2, vcc
	v_mov_b32_e32 v16, 0x201
	v_mov_b32_e32 v17, 0x400
	;; [unrolled: 1-line block ×5, first 2 shown]
	s_movk_i32 s4, 0x3ff
	s_mov_b32 s5, s7
	s_branch .LBB22_9
.LBB22_8:                               ;   in Loop: Header=BB22_9 Depth=1
	s_or_b64 exec, exec, s[0:1]
	s_addk_i32 s6, 0x400
	s_addk_i32 s5, 0xfc00
	v_add_co_u32_e32 v0, vcc, 0x2000, v0
	s_cmp_lt_u32 s6, s7
	v_addc_co_u32_e32 v1, vcc, 0, v1, vcc
	s_cbranch_scc0 .LBB22_35
.LBB22_9:                               ; =>This Inner Loop Header: Depth=1
	s_waitcnt lgkmcnt(0)
	v_add_u32_e32 v10, s6, v12
	v_cmp_lt_u32_e32 vcc, v10, v8
	v_cndmask_b32_e32 v3, v19, v20, vcc
	v_lshlrev_b32_e32 v4, 2, v3
	ds_read_b32 v4, v4 offset:8192
	v_cndmask_b32_e64 v2, v16, 0, vcc
	v_cndmask_b32_e32 v5, v17, v18, vcc
	v_or_b32_e32 v6, 1, v3
	s_waitcnt lgkmcnt(0)
	v_cmp_lt_u32_e32 vcc, v10, v4
	v_cndmask_b32_e32 v2, v6, v2, vcc
	v_cndmask_b32_e32 v3, v5, v3, vcc
	v_sub_u32_e32 v4, v3, v2
	v_lshrrev_b16_e32 v5, 15, v4
	v_add_u16_e32 v4, v4, v5
	v_ashrrev_i16_e32 v4, 1, v4
	v_add_u32_sdwa v4, v2, sext(v4) dst_sel:DWORD dst_unused:UNUSED_PAD src0_sel:DWORD src1_sel:WORD_0
	v_min_i32_e32 v4, 0x3ff, v4
	v_lshlrev_b32_e32 v5, 2, v4
	ds_read_b32 v5, v5 offset:8192
	v_add_u32_e32 v6, 1, v4
	s_waitcnt lgkmcnt(0)
	v_cmp_lt_u32_e32 vcc, v10, v5
	v_cndmask_b32_e32 v2, v6, v2, vcc
	v_cndmask_b32_e32 v3, v3, v4, vcc
	v_sub_u32_e32 v4, v3, v2
	v_lshrrev_b16_e32 v5, 15, v4
	v_add_u16_e32 v4, v4, v5
	v_ashrrev_i16_e32 v4, 1, v4
	v_add_u32_sdwa v4, v2, sext(v4) dst_sel:DWORD dst_unused:UNUSED_PAD src0_sel:DWORD src1_sel:WORD_0
	v_min_i32_e32 v4, 0x3ff, v4
	v_lshlrev_b32_e32 v5, 2, v4
	ds_read_b32 v5, v5 offset:8192
	v_add_u32_e32 v6, 1, v4
	;; [unrolled: 13-line block ×9, first 2 shown]
	s_waitcnt lgkmcnt(0)
	v_cmp_lt_u32_e32 vcc, v10, v4
	v_cndmask_b32_e32 v6, v3, v2, vcc
	v_add_u32_e32 v21, -1, v6
	v_cmp_ne_u32_e32 vcc, s4, v21
                                        ; implicit-def: $vgpr4
	s_and_saveexec_b64 s[0:1], vcc
	s_xor_b64 s[0:1], exec, s[0:1]
; %bb.10:                               ;   in Loop: Header=BB22_9 Depth=1
	v_lshlrev_b32_e32 v2, 2, v6
	ds_read_b32 v4, v2 offset:8192
; %bb.11:                               ;   in Loop: Header=BB22_9 Depth=1
	s_andn2_saveexec_b64 s[0:1], s[0:1]
	s_cbranch_execz .LBB22_13
; %bb.12:                               ;   in Loop: Header=BB22_9 Depth=1
	s_waitcnt lgkmcnt(0)
	v_add_u32_e32 v4, 4, v10
.LBB22_13:                              ;   in Loop: Header=BB22_9 Depth=1
	s_or_b64 exec, exec, s[0:1]
	v_lshlrev_b32_e32 v2, 3, v21
	ds_read_b64 v[2:3], v2
	s_waitcnt lgkmcnt(1)
	v_add_u32_e32 v11, -1, v4
	v_cmp_eq_u32_e32 vcc, v10, v11
	s_waitcnt lgkmcnt(0)
	v_mov_b32_e32 v5, v3
	v_mov_b32_e32 v4, v2
	s_and_saveexec_b64 s[0:1], vcc
	s_cbranch_execz .LBB22_19
; %bb.14:                               ;   in Loop: Header=BB22_9 Depth=1
	v_cmp_ne_u32_e32 vcc, s4, v6
                                        ; implicit-def: $vgpr7
	s_and_saveexec_b64 s[2:3], vcc
	s_xor_b64 s[2:3], exec, s[2:3]
; %bb.15:                               ;   in Loop: Header=BB22_9 Depth=1
	v_lshlrev_b32_e32 v4, 2, v6
	ds_read_b32 v7, v4 offset:8196
; %bb.16:                               ;   in Loop: Header=BB22_9 Depth=1
	s_andn2_saveexec_b64 s[2:3], s[2:3]
	s_cbranch_execz .LBB22_18
; %bb.17:                               ;   in Loop: Header=BB22_9 Depth=1
	s_waitcnt lgkmcnt(0)
	v_add_u32_e32 v7, 4, v10
.LBB22_18:                              ;   in Loop: Header=BB22_9 Depth=1
	s_or_b64 exec, exec, s[2:3]
	v_lshlrev_b32_e32 v4, 3, v6
	ds_read_b64 v[4:5], v4
	s_waitcnt lgkmcnt(1)
	v_add_u32_e32 v11, -1, v7
	v_mov_b32_e32 v21, v6
.LBB22_19:                              ;   in Loop: Header=BB22_9 Depth=1
	s_or_b64 exec, exec, s[0:1]
	v_add_u32_e32 v6, 1, v10
	v_cmp_eq_u32_e32 vcc, v6, v11
	s_waitcnt lgkmcnt(0)
	v_mov_b32_e32 v7, v5
	v_mov_b32_e32 v6, v4
	s_and_saveexec_b64 s[0:1], vcc
	s_cbranch_execz .LBB22_25
; %bb.20:                               ;   in Loop: Header=BB22_9 Depth=1
	v_add_u32_e32 v22, 1, v21
	v_cmp_ne_u32_e32 vcc, s4, v22
                                        ; implicit-def: $vgpr11
	s_and_saveexec_b64 s[2:3], vcc
	s_xor_b64 s[2:3], exec, s[2:3]
; %bb.21:                               ;   in Loop: Header=BB22_9 Depth=1
	v_lshlrev_b32_e32 v6, 2, v21
	ds_read_b32 v11, v6 offset:8200
; %bb.22:                               ;   in Loop: Header=BB22_9 Depth=1
	s_andn2_saveexec_b64 s[2:3], s[2:3]
	s_cbranch_execz .LBB22_24
; %bb.23:                               ;   in Loop: Header=BB22_9 Depth=1
	s_waitcnt lgkmcnt(0)
	v_add_u32_e32 v11, 5, v10
.LBB22_24:                              ;   in Loop: Header=BB22_9 Depth=1
	s_or_b64 exec, exec, s[2:3]
	v_lshlrev_b32_e32 v6, 3, v21
	ds_read_b64 v[6:7], v6 offset:8
	s_waitcnt lgkmcnt(1)
	v_add_u32_e32 v11, -1, v11
	v_mov_b32_e32 v21, v22
.LBB22_25:                              ;   in Loop: Header=BB22_9 Depth=1
	s_or_b64 exec, exec, s[0:1]
	v_add_u32_e32 v10, 2, v10
	v_cmp_eq_u32_e32 vcc, v10, v11
	s_waitcnt lgkmcnt(0)
	v_mov_b32_e32 v11, v7
	v_mov_b32_e32 v10, v6
	s_and_saveexec_b64 s[0:1], vcc
; %bb.26:                               ;   in Loop: Header=BB22_9 Depth=1
	v_lshlrev_b32_e32 v10, 3, v21
	ds_read_b64 v[10:11], v10 offset:8
; %bb.27:                               ;   in Loop: Header=BB22_9 Depth=1
	s_or_b64 exec, exec, s[0:1]
	s_min_u32 s2, s5, 0x400
	v_cmp_gt_u32_e32 vcc, s2, v9
	s_and_saveexec_b64 s[0:1], vcc
	s_cbranch_execnz .LBB22_31
; %bb.28:                               ;   in Loop: Header=BB22_9 Depth=1
	s_or_b64 exec, exec, s[0:1]
	v_cmp_gt_u32_e32 vcc, s2, v13
	s_and_saveexec_b64 s[0:1], vcc
	s_cbranch_execnz .LBB22_32
.LBB22_29:                              ;   in Loop: Header=BB22_9 Depth=1
	s_or_b64 exec, exec, s[0:1]
	v_cmp_gt_u32_e32 vcc, s2, v14
	s_and_saveexec_b64 s[0:1], vcc
	s_cbranch_execnz .LBB22_33
.LBB22_30:                              ;   in Loop: Header=BB22_9 Depth=1
	s_or_b64 exec, exec, s[0:1]
	v_cmp_gt_u32_e32 vcc, s2, v15
	s_and_saveexec_b64 s[0:1], vcc
	s_cbranch_execz .LBB22_8
	s_branch .LBB22_34
.LBB22_31:                              ;   in Loop: Header=BB22_9 Depth=1
	global_store_dwordx2 v[0:1], v[2:3], off offset:-16
	s_or_b64 exec, exec, s[0:1]
	v_cmp_gt_u32_e32 vcc, s2, v13
	s_and_saveexec_b64 s[0:1], vcc
	s_cbranch_execz .LBB22_29
.LBB22_32:                              ;   in Loop: Header=BB22_9 Depth=1
	global_store_dwordx2 v[0:1], v[4:5], off offset:-8
	s_or_b64 exec, exec, s[0:1]
	v_cmp_gt_u32_e32 vcc, s2, v14
	s_and_saveexec_b64 s[0:1], vcc
	s_cbranch_execz .LBB22_30
.LBB22_33:                              ;   in Loop: Header=BB22_9 Depth=1
	global_store_dwordx2 v[0:1], v[6:7], off
	s_or_b64 exec, exec, s[0:1]
	v_cmp_gt_u32_e32 vcc, s2, v15
	s_and_saveexec_b64 s[0:1], vcc
	s_cbranch_execz .LBB22_8
.LBB22_34:                              ;   in Loop: Header=BB22_9 Depth=1
	s_waitcnt lgkmcnt(0)
	global_store_dwordx2 v[0:1], v[10:11], off offset:8
	s_branch .LBB22_8
.LBB22_35:
	s_endpgm
	.section	.rodata,"a",@progbits
	.p2align	6, 0x0
	.amdhsa_kernel _Z30block_run_length_decode_kernelIdcLj256ELj4ELj4EEvPKT_PKT0_PS0_
		.amdhsa_group_segment_fixed_size 12288
		.amdhsa_private_segment_fixed_size 0
		.amdhsa_kernarg_size 24
		.amdhsa_user_sgpr_count 6
		.amdhsa_user_sgpr_private_segment_buffer 1
		.amdhsa_user_sgpr_dispatch_ptr 0
		.amdhsa_user_sgpr_queue_ptr 0
		.amdhsa_user_sgpr_kernarg_segment_ptr 1
		.amdhsa_user_sgpr_dispatch_id 0
		.amdhsa_user_sgpr_flat_scratch_init 0
		.amdhsa_user_sgpr_private_segment_size 0
		.amdhsa_uses_dynamic_stack 0
		.amdhsa_system_sgpr_private_segment_wavefront_offset 0
		.amdhsa_system_sgpr_workgroup_id_x 1
		.amdhsa_system_sgpr_workgroup_id_y 0
		.amdhsa_system_sgpr_workgroup_id_z 0
		.amdhsa_system_sgpr_workgroup_info 0
		.amdhsa_system_vgpr_workitem_id 0
		.amdhsa_next_free_vgpr 41
		.amdhsa_next_free_sgpr 98
		.amdhsa_reserve_vcc 1
		.amdhsa_reserve_flat_scratch 0
		.amdhsa_float_round_mode_32 0
		.amdhsa_float_round_mode_16_64 0
		.amdhsa_float_denorm_mode_32 3
		.amdhsa_float_denorm_mode_16_64 3
		.amdhsa_dx10_clamp 1
		.amdhsa_ieee_mode 1
		.amdhsa_fp16_overflow 0
		.amdhsa_exception_fp_ieee_invalid_op 0
		.amdhsa_exception_fp_denorm_src 0
		.amdhsa_exception_fp_ieee_div_zero 0
		.amdhsa_exception_fp_ieee_overflow 0
		.amdhsa_exception_fp_ieee_underflow 0
		.amdhsa_exception_fp_ieee_inexact 0
		.amdhsa_exception_int_div_zero 0
	.end_amdhsa_kernel
	.section	.text._Z30block_run_length_decode_kernelIdcLj256ELj4ELj4EEvPKT_PKT0_PS0_,"axG",@progbits,_Z30block_run_length_decode_kernelIdcLj256ELj4ELj4EEvPKT_PKT0_PS0_,comdat
.Lfunc_end22:
	.size	_Z30block_run_length_decode_kernelIdcLj256ELj4ELj4EEvPKT_PKT0_PS0_, .Lfunc_end22-_Z30block_run_length_decode_kernelIdcLj256ELj4ELj4EEvPKT_PKT0_PS0_
                                        ; -- End function
	.set _Z30block_run_length_decode_kernelIdcLj256ELj4ELj4EEvPKT_PKT0_PS0_.num_vgpr, 23
	.set _Z30block_run_length_decode_kernelIdcLj256ELj4ELj4EEvPKT_PKT0_PS0_.num_agpr, 0
	.set _Z30block_run_length_decode_kernelIdcLj256ELj4ELj4EEvPKT_PKT0_PS0_.numbered_sgpr, 8
	.set _Z30block_run_length_decode_kernelIdcLj256ELj4ELj4EEvPKT_PKT0_PS0_.num_named_barrier, 0
	.set _Z30block_run_length_decode_kernelIdcLj256ELj4ELj4EEvPKT_PKT0_PS0_.private_seg_size, 0
	.set _Z30block_run_length_decode_kernelIdcLj256ELj4ELj4EEvPKT_PKT0_PS0_.uses_vcc, 1
	.set _Z30block_run_length_decode_kernelIdcLj256ELj4ELj4EEvPKT_PKT0_PS0_.uses_flat_scratch, 0
	.set _Z30block_run_length_decode_kernelIdcLj256ELj4ELj4EEvPKT_PKT0_PS0_.has_dyn_sized_stack, 0
	.set _Z30block_run_length_decode_kernelIdcLj256ELj4ELj4EEvPKT_PKT0_PS0_.has_recursion, 0
	.set _Z30block_run_length_decode_kernelIdcLj256ELj4ELj4EEvPKT_PKT0_PS0_.has_indirect_call, 0
	.section	.AMDGPU.csdata,"",@progbits
; Kernel info:
; codeLenInByte = 1864
; TotalNumSgprs: 12
; NumVgprs: 23
; ScratchSize: 0
; MemoryBound: 0
; FloatMode: 240
; IeeeMode: 1
; LDSByteSize: 12288 bytes/workgroup (compile time only)
; SGPRBlocks: 12
; VGPRBlocks: 10
; NumSGPRsForWavesPerEU: 102
; NumVGPRsForWavesPerEU: 41
; Occupancy: 5
; WaveLimiterHint : 0
; COMPUTE_PGM_RSRC2:SCRATCH_EN: 0
; COMPUTE_PGM_RSRC2:USER_SGPR: 6
; COMPUTE_PGM_RSRC2:TRAP_HANDLER: 0
; COMPUTE_PGM_RSRC2:TGID_X_EN: 1
; COMPUTE_PGM_RSRC2:TGID_Y_EN: 0
; COMPUTE_PGM_RSRC2:TGID_Z_EN: 0
; COMPUTE_PGM_RSRC2:TIDIG_COMP_CNT: 0
	.section	.text._Z30block_run_length_decode_kernelIiiLj256ELj4ELj4EEvPKT_PKT0_PS0_,"axG",@progbits,_Z30block_run_length_decode_kernelIiiLj256ELj4ELj4EEvPKT_PKT0_PS0_,comdat
	.protected	_Z30block_run_length_decode_kernelIiiLj256ELj4ELj4EEvPKT_PKT0_PS0_ ; -- Begin function _Z30block_run_length_decode_kernelIiiLj256ELj4ELj4EEvPKT_PKT0_PS0_
	.globl	_Z30block_run_length_decode_kernelIiiLj256ELj4ELj4EEvPKT_PKT0_PS0_
	.p2align	8
	.type	_Z30block_run_length_decode_kernelIiiLj256ELj4ELj4EEvPKT_PKT0_PS0_,@function
_Z30block_run_length_decode_kernelIiiLj256ELj4ELj4EEvPKT_PKT0_PS0_: ; @_Z30block_run_length_decode_kernelIiiLj256ELj4ELj4EEvPKT_PKT0_PS0_
; %bb.0:
	s_load_dwordx4 s[0:3], s[4:5], 0x0
	v_lshlrev_b32_e32 v12, 2, v0
	v_lshl_or_b32 v9, s6, 10, v12
	v_mov_b32_e32 v10, 0
	v_lshlrev_b64 v[10:11], 2, v[9:10]
	s_waitcnt lgkmcnt(0)
	v_mov_b32_e32 v2, s3
	v_add_co_u32_e32 v1, vcc, s2, v10
	v_addc_co_u32_e32 v2, vcc, v2, v11, vcc
	global_load_dwordx4 v[5:8], v[1:2], off
	v_mov_b32_e32 v2, s1
	v_add_co_u32_e32 v1, vcc, s0, v10
	v_addc_co_u32_e32 v2, vcc, v2, v11, vcc
	global_load_dwordx4 v[1:4], v[1:2], off
	v_mbcnt_lo_u32_b32 v13, -1, 0
	v_mbcnt_hi_u32_b32 v13, -1, v13
	v_and_b32_e32 v16, 15, v13
	v_cmp_ne_u32_e32 vcc, 0, v16
	v_bfe_i32 v17, v13, 4, 1
	v_or_b32_e32 v15, 63, v0
	v_lshrrev_b32_e32 v14, 6, v0
	s_waitcnt vmcnt(1)
	v_add_u32_e32 v18, v6, v5
	v_add3_u32 v8, v18, v7, v8
	s_nop 1
	v_mov_b32_dpp v18, v8 row_shr:1 row_mask:0xf bank_mask:0xf
	v_cndmask_b32_e32 v18, 0, v18, vcc
	v_add_u32_e32 v8, v18, v8
	v_cmp_lt_u32_e32 vcc, 1, v16
	s_nop 0
	v_mov_b32_dpp v18, v8 row_shr:2 row_mask:0xf bank_mask:0xf
	v_cndmask_b32_e32 v18, 0, v18, vcc
	v_add_u32_e32 v8, v8, v18
	v_cmp_lt_u32_e32 vcc, 3, v16
	;; [unrolled: 5-line block ×4, first 2 shown]
	s_nop 0
	v_mov_b32_dpp v16, v8 row_bcast:15 row_mask:0xf bank_mask:0xf
	v_and_b32_e32 v16, v17, v16
	v_add_u32_e32 v8, v8, v16
	s_nop 1
	v_mov_b32_dpp v16, v8 row_bcast:31 row_mask:0xf bank_mask:0xf
	v_cndmask_b32_e32 v16, 0, v16, vcc
	v_add_u32_e32 v8, v8, v16
	v_cmp_eq_u32_e32 vcc, v0, v15
	s_and_saveexec_b64 s[0:1], vcc
; %bb.1:
	v_lshlrev_b32_e32 v15, 2, v14
	ds_write_b32 v15, v8
; %bb.2:
	s_or_b64 exec, exec, s[0:1]
	v_cmp_gt_u32_e32 vcc, 4, v0
	s_waitcnt vmcnt(0) lgkmcnt(0)
	s_barrier
	s_and_saveexec_b64 s[0:1], vcc
	s_cbranch_execz .LBB23_4
; %bb.3:
	ds_read_b32 v15, v12
	v_and_b32_e32 v16, 3, v13
	v_cmp_ne_u32_e32 vcc, 0, v16
	s_waitcnt lgkmcnt(0)
	v_mov_b32_dpp v17, v15 row_shr:1 row_mask:0xf bank_mask:0xf
	v_cndmask_b32_e32 v17, 0, v17, vcc
	v_add_u32_e32 v15, v17, v15
	v_cmp_lt_u32_e32 vcc, 1, v16
	s_nop 0
	v_mov_b32_dpp v17, v15 row_shr:2 row_mask:0xf bank_mask:0xf
	v_cndmask_b32_e32 v16, 0, v17, vcc
	v_add_u32_e32 v15, v15, v16
	ds_write_b32 v12, v15
.LBB23_4:
	s_or_b64 exec, exec, s[0:1]
	v_cmp_lt_u32_e32 vcc, 63, v0
	v_mov_b32_e32 v15, 0
	v_mov_b32_e32 v16, 0
	s_waitcnt lgkmcnt(0)
	s_barrier
	s_and_saveexec_b64 s[0:1], vcc
; %bb.5:
	v_lshl_add_u32 v14, v14, 2, -4
	ds_read_b32 v16, v14
; %bb.6:
	s_or_b64 exec, exec, s[0:1]
	v_subrev_co_u32_e32 v14, vcc, 1, v13
	v_and_b32_e32 v17, 64, v13
	v_cmp_lt_i32_e64 s[0:1], v14, v17
	v_cndmask_b32_e64 v13, v14, v13, s[0:1]
	s_waitcnt lgkmcnt(0)
	v_add_u32_e32 v8, v16, v8
	v_lshlrev_b32_e32 v13, 2, v13
	ds_bpermute_b32 v8, v13, v8
	ds_read_b32 v15, v15 offset:12
	s_mov_b32 s6, 0
	s_waitcnt lgkmcnt(0)
	s_barrier
	v_cndmask_b32_e32 v8, v8, v16, vcc
	v_cmp_ne_u32_e32 vcc, 0, v0
	v_cndmask_b32_e32 v13, 0, v8, vcc
	v_add_u32_e32 v14, v13, v5
	v_cmp_eq_u32_e32 vcc, 0, v15
	v_add_u32_e32 v5, v14, v6
	v_readfirstlane_b32 s7, v15
	v_lshlrev_b32_e32 v0, 2, v12
	s_and_b64 vcc, exec, vcc
	v_add_u32_e32 v6, v5, v7
	v_or_b32_e32 v7, 0x1000, v0
	ds_write2_b64 v0, v[1:2], v[3:4] offset1:1
	ds_write2_b64 v7, v[13:14], v[5:6] offset1:1
	s_waitcnt lgkmcnt(0)
	s_barrier
	s_cbranch_vccnz .LBB23_35
; %bb.7:
	s_load_dwordx2 s[0:1], s[4:5], 0x10
	v_mov_b32_e32 v0, 0
	ds_read_b32 v5, v0 offset:6144
	v_or_b32_e32 v2, 1, v9
	v_or_b32_e32 v3, 2, v9
	s_waitcnt lgkmcnt(0)
	v_mov_b32_e32 v0, s1
	v_add_co_u32_e32 v1, vcc, s0, v10
	v_addc_co_u32_e32 v6, vcc, v0, v11, vcc
	v_add_co_u32_e32 v0, vcc, 8, v1
	v_or_b32_e32 v4, 3, v9
	v_addc_co_u32_e32 v1, vcc, 0, v6, vcc
	v_mov_b32_e32 v6, 0x201
	v_mov_b32_e32 v7, 0x400
	v_mov_b32_e32 v8, 0x200
	v_mov_b32_e32 v10, 0x300
	v_mov_b32_e32 v11, 0x100
	s_movk_i32 s4, 0x3ff
	s_mov_b32 s5, s7
	s_branch .LBB23_9
.LBB23_8:                               ;   in Loop: Header=BB23_9 Depth=1
	s_or_b64 exec, exec, s[0:1]
	s_addk_i32 s6, 0x400
	s_addk_i32 s5, 0xfc00
	v_add_co_u32_e32 v0, vcc, 0x1000, v0
	s_cmp_lt_u32 s6, s7
	v_addc_co_u32_e32 v1, vcc, 0, v1, vcc
	s_cbranch_scc0 .LBB23_35
.LBB23_9:                               ; =>This Inner Loop Header: Depth=1
	s_waitcnt lgkmcnt(0)
	v_add_u32_e32 v13, s6, v12
	v_cmp_lt_u32_e32 vcc, v13, v5
	v_cndmask_b32_e32 v15, v10, v11, vcc
	v_lshlrev_b32_e32 v16, 2, v15
	ds_read_b32 v16, v16 offset:4096
	v_cndmask_b32_e64 v14, v6, 0, vcc
	v_cndmask_b32_e32 v17, v7, v8, vcc
	v_or_b32_e32 v18, 1, v15
	s_waitcnt lgkmcnt(0)
	v_cmp_lt_u32_e32 vcc, v13, v16
	v_cndmask_b32_e32 v14, v18, v14, vcc
	v_cndmask_b32_e32 v15, v17, v15, vcc
	v_sub_u32_e32 v16, v15, v14
	v_lshrrev_b16_e32 v17, 15, v16
	v_add_u16_e32 v16, v16, v17
	v_ashrrev_i16_e32 v16, 1, v16
	v_add_u32_sdwa v16, v14, sext(v16) dst_sel:DWORD dst_unused:UNUSED_PAD src0_sel:DWORD src1_sel:WORD_0
	v_min_i32_e32 v16, 0x3ff, v16
	v_lshlrev_b32_e32 v17, 2, v16
	ds_read_b32 v17, v17 offset:4096
	v_add_u32_e32 v18, 1, v16
	s_waitcnt lgkmcnt(0)
	v_cmp_lt_u32_e32 vcc, v13, v17
	v_cndmask_b32_e32 v14, v18, v14, vcc
	v_cndmask_b32_e32 v15, v15, v16, vcc
	v_sub_u32_e32 v16, v15, v14
	v_lshrrev_b16_e32 v17, 15, v16
	v_add_u16_e32 v16, v16, v17
	v_ashrrev_i16_e32 v16, 1, v16
	v_add_u32_sdwa v16, v14, sext(v16) dst_sel:DWORD dst_unused:UNUSED_PAD src0_sel:DWORD src1_sel:WORD_0
	v_min_i32_e32 v16, 0x3ff, v16
	v_lshlrev_b32_e32 v17, 2, v16
	ds_read_b32 v17, v17 offset:4096
	v_add_u32_e32 v18, 1, v16
	s_waitcnt lgkmcnt(0)
	v_cmp_lt_u32_e32 vcc, v13, v17
	v_cndmask_b32_e32 v14, v18, v14, vcc
	v_cndmask_b32_e32 v15, v15, v16, vcc
	v_sub_u32_e32 v16, v15, v14
	v_lshrrev_b16_e32 v17, 15, v16
	v_add_u16_e32 v16, v16, v17
	v_ashrrev_i16_e32 v16, 1, v16
	v_add_u32_sdwa v16, v14, sext(v16) dst_sel:DWORD dst_unused:UNUSED_PAD src0_sel:DWORD src1_sel:WORD_0
	v_min_i32_e32 v16, 0x3ff, v16
	v_lshlrev_b32_e32 v17, 2, v16
	ds_read_b32 v17, v17 offset:4096
	v_add_u32_e32 v18, 1, v16
	s_waitcnt lgkmcnt(0)
	v_cmp_lt_u32_e32 vcc, v13, v17
	v_cndmask_b32_e32 v14, v18, v14, vcc
	v_cndmask_b32_e32 v15, v15, v16, vcc
	v_sub_u32_e32 v16, v15, v14
	v_lshrrev_b16_e32 v17, 15, v16
	v_add_u16_e32 v16, v16, v17
	v_ashrrev_i16_e32 v16, 1, v16
	v_add_u32_sdwa v16, v14, sext(v16) dst_sel:DWORD dst_unused:UNUSED_PAD src0_sel:DWORD src1_sel:WORD_0
	v_min_i32_e32 v16, 0x3ff, v16
	v_lshlrev_b32_e32 v17, 2, v16
	ds_read_b32 v17, v17 offset:4096
	v_add_u32_e32 v18, 1, v16
	s_waitcnt lgkmcnt(0)
	v_cmp_lt_u32_e32 vcc, v13, v17
	v_cndmask_b32_e32 v14, v18, v14, vcc
	v_cndmask_b32_e32 v15, v15, v16, vcc
	v_sub_u32_e32 v16, v15, v14
	v_lshrrev_b16_e32 v17, 15, v16
	v_add_u16_e32 v16, v16, v17
	v_ashrrev_i16_e32 v16, 1, v16
	v_add_u32_sdwa v16, v14, sext(v16) dst_sel:DWORD dst_unused:UNUSED_PAD src0_sel:DWORD src1_sel:WORD_0
	v_min_i32_e32 v16, 0x3ff, v16
	v_lshlrev_b32_e32 v17, 2, v16
	ds_read_b32 v17, v17 offset:4096
	v_add_u32_e32 v18, 1, v16
	s_waitcnt lgkmcnt(0)
	v_cmp_lt_u32_e32 vcc, v13, v17
	v_cndmask_b32_e32 v14, v18, v14, vcc
	v_cndmask_b32_e32 v15, v15, v16, vcc
	v_sub_u32_e32 v16, v15, v14
	v_lshrrev_b16_e32 v17, 15, v16
	v_add_u16_e32 v16, v16, v17
	v_ashrrev_i16_e32 v16, 1, v16
	v_add_u32_sdwa v16, v14, sext(v16) dst_sel:DWORD dst_unused:UNUSED_PAD src0_sel:DWORD src1_sel:WORD_0
	v_min_i32_e32 v16, 0x3ff, v16
	v_lshlrev_b32_e32 v17, 2, v16
	ds_read_b32 v17, v17 offset:4096
	v_add_u32_e32 v18, 1, v16
	s_waitcnt lgkmcnt(0)
	v_cmp_lt_u32_e32 vcc, v13, v17
	v_cndmask_b32_e32 v14, v18, v14, vcc
	v_cndmask_b32_e32 v15, v15, v16, vcc
	v_sub_u32_e32 v16, v15, v14
	v_lshrrev_b16_e32 v17, 15, v16
	v_add_u16_e32 v16, v16, v17
	v_ashrrev_i16_e32 v16, 1, v16
	v_add_u32_sdwa v16, v14, sext(v16) dst_sel:DWORD dst_unused:UNUSED_PAD src0_sel:DWORD src1_sel:WORD_0
	v_min_i32_e32 v16, 0x3ff, v16
	v_lshlrev_b32_e32 v17, 2, v16
	ds_read_b32 v17, v17 offset:4096
	v_add_u32_e32 v18, 1, v16
	s_waitcnt lgkmcnt(0)
	v_cmp_lt_u32_e32 vcc, v13, v17
	v_cndmask_b32_e32 v14, v18, v14, vcc
	v_cndmask_b32_e32 v15, v15, v16, vcc
	v_sub_u32_e32 v16, v15, v14
	v_lshrrev_b16_e32 v17, 15, v16
	v_add_u16_e32 v16, v16, v17
	v_ashrrev_i16_e32 v16, 1, v16
	v_add_u32_sdwa v16, v14, sext(v16) dst_sel:DWORD dst_unused:UNUSED_PAD src0_sel:DWORD src1_sel:WORD_0
	v_min_i32_e32 v16, 0x3ff, v16
	v_lshlrev_b32_e32 v17, 2, v16
	ds_read_b32 v17, v17 offset:4096
	v_add_u32_e32 v18, 1, v16
	s_waitcnt lgkmcnt(0)
	v_cmp_lt_u32_e32 vcc, v13, v17
	v_cndmask_b32_e32 v14, v18, v14, vcc
	v_cndmask_b32_e32 v15, v15, v16, vcc
	v_sub_u32_e32 v15, v15, v14
	v_lshrrev_b16_e32 v16, 15, v15
	v_add_u16_e32 v15, v15, v16
	v_ashrrev_i16_e32 v15, 1, v15
	v_add_u32_sdwa v15, v14, sext(v15) dst_sel:DWORD dst_unused:UNUSED_PAD src0_sel:DWORD src1_sel:WORD_0
	v_min_i32_e32 v15, 0x3ff, v15
	v_lshlrev_b32_e32 v16, 2, v15
	ds_read_b32 v16, v16 offset:4096
	v_add_u32_e32 v15, 1, v15
	s_waitcnt lgkmcnt(0)
	v_cmp_lt_u32_e32 vcc, v13, v16
	v_cndmask_b32_e32 v17, v15, v14, vcc
	v_add_u32_e32 v16, -1, v17
	v_cmp_ne_u32_e32 vcc, s4, v16
                                        ; implicit-def: $vgpr15
	s_and_saveexec_b64 s[0:1], vcc
	s_xor_b64 s[0:1], exec, s[0:1]
; %bb.10:                               ;   in Loop: Header=BB23_9 Depth=1
	v_lshlrev_b32_e32 v14, 2, v17
	ds_read_b32 v15, v14 offset:4096
; %bb.11:                               ;   in Loop: Header=BB23_9 Depth=1
	s_andn2_saveexec_b64 s[0:1], s[0:1]
	s_cbranch_execz .LBB23_13
; %bb.12:                               ;   in Loop: Header=BB23_9 Depth=1
	s_waitcnt lgkmcnt(0)
	v_add_u32_e32 v15, 4, v13
.LBB23_13:                              ;   in Loop: Header=BB23_9 Depth=1
	s_or_b64 exec, exec, s[0:1]
	v_lshlrev_b32_e32 v14, 2, v16
	ds_read_b32 v14, v14
	s_waitcnt lgkmcnt(1)
	v_add_u32_e32 v18, -1, v15
	v_cmp_eq_u32_e32 vcc, v13, v18
	s_waitcnt lgkmcnt(0)
	v_mov_b32_e32 v15, v14
	s_and_saveexec_b64 s[0:1], vcc
	s_cbranch_execz .LBB23_19
; %bb.14:                               ;   in Loop: Header=BB23_9 Depth=1
	v_cmp_ne_u32_e32 vcc, s4, v17
	v_lshlrev_b32_e32 v15, 2, v17
                                        ; implicit-def: $vgpr16
	s_and_saveexec_b64 s[2:3], vcc
	s_xor_b64 s[2:3], exec, s[2:3]
; %bb.15:                               ;   in Loop: Header=BB23_9 Depth=1
	ds_read_b32 v16, v15 offset:4100
; %bb.16:                               ;   in Loop: Header=BB23_9 Depth=1
	s_andn2_saveexec_b64 s[2:3], s[2:3]
	s_cbranch_execz .LBB23_18
; %bb.17:                               ;   in Loop: Header=BB23_9 Depth=1
	s_waitcnt lgkmcnt(0)
	v_add_u32_e32 v16, 4, v13
.LBB23_18:                              ;   in Loop: Header=BB23_9 Depth=1
	s_or_b64 exec, exec, s[2:3]
	ds_read_b32 v15, v15
	s_waitcnt lgkmcnt(1)
	v_add_u32_e32 v18, -1, v16
	v_mov_b32_e32 v16, v17
.LBB23_19:                              ;   in Loop: Header=BB23_9 Depth=1
	s_or_b64 exec, exec, s[0:1]
	v_add_u32_e32 v17, 1, v13
	v_cmp_eq_u32_e32 vcc, v17, v18
	s_waitcnt lgkmcnt(0)
	v_mov_b32_e32 v17, v15
	s_and_saveexec_b64 s[0:1], vcc
	s_cbranch_execz .LBB23_25
; %bb.20:                               ;   in Loop: Header=BB23_9 Depth=1
	v_add_u32_e32 v19, 1, v16
	v_cmp_ne_u32_e32 vcc, s4, v19
	v_lshlrev_b32_e32 v16, 2, v16
                                        ; implicit-def: $vgpr18
	s_and_saveexec_b64 s[2:3], vcc
	s_xor_b64 s[2:3], exec, s[2:3]
; %bb.21:                               ;   in Loop: Header=BB23_9 Depth=1
	ds_read_b32 v18, v16 offset:4104
; %bb.22:                               ;   in Loop: Header=BB23_9 Depth=1
	s_andn2_saveexec_b64 s[2:3], s[2:3]
	s_cbranch_execz .LBB23_24
; %bb.23:                               ;   in Loop: Header=BB23_9 Depth=1
	s_waitcnt lgkmcnt(0)
	v_add_u32_e32 v18, 5, v13
.LBB23_24:                              ;   in Loop: Header=BB23_9 Depth=1
	s_or_b64 exec, exec, s[2:3]
	ds_read_b32 v17, v16 offset:4
	s_waitcnt lgkmcnt(1)
	v_add_u32_e32 v18, -1, v18
	v_mov_b32_e32 v16, v19
.LBB23_25:                              ;   in Loop: Header=BB23_9 Depth=1
	s_or_b64 exec, exec, s[0:1]
	v_add_u32_e32 v13, 2, v13
	v_cmp_eq_u32_e32 vcc, v13, v18
	s_waitcnt lgkmcnt(0)
	v_mov_b32_e32 v13, v17
	s_and_saveexec_b64 s[0:1], vcc
; %bb.26:                               ;   in Loop: Header=BB23_9 Depth=1
	v_lshlrev_b32_e32 v13, 2, v16
	ds_read_b32 v13, v13 offset:4
; %bb.27:                               ;   in Loop: Header=BB23_9 Depth=1
	s_or_b64 exec, exec, s[0:1]
	s_min_u32 s2, s5, 0x400
	v_cmp_gt_u32_e32 vcc, s2, v9
	s_and_saveexec_b64 s[0:1], vcc
	s_cbranch_execnz .LBB23_31
; %bb.28:                               ;   in Loop: Header=BB23_9 Depth=1
	s_or_b64 exec, exec, s[0:1]
	v_cmp_gt_u32_e32 vcc, s2, v2
	s_and_saveexec_b64 s[0:1], vcc
	s_cbranch_execnz .LBB23_32
.LBB23_29:                              ;   in Loop: Header=BB23_9 Depth=1
	s_or_b64 exec, exec, s[0:1]
	v_cmp_gt_u32_e32 vcc, s2, v3
	s_and_saveexec_b64 s[0:1], vcc
	s_cbranch_execnz .LBB23_33
.LBB23_30:                              ;   in Loop: Header=BB23_9 Depth=1
	s_or_b64 exec, exec, s[0:1]
	v_cmp_gt_u32_e32 vcc, s2, v4
	s_and_saveexec_b64 s[0:1], vcc
	s_cbranch_execz .LBB23_8
	s_branch .LBB23_34
.LBB23_31:                              ;   in Loop: Header=BB23_9 Depth=1
	global_store_dword v[0:1], v14, off offset:-8
	s_or_b64 exec, exec, s[0:1]
	v_cmp_gt_u32_e32 vcc, s2, v2
	s_and_saveexec_b64 s[0:1], vcc
	s_cbranch_execz .LBB23_29
.LBB23_32:                              ;   in Loop: Header=BB23_9 Depth=1
	global_store_dword v[0:1], v15, off offset:-4
	s_or_b64 exec, exec, s[0:1]
	v_cmp_gt_u32_e32 vcc, s2, v3
	s_and_saveexec_b64 s[0:1], vcc
	s_cbranch_execz .LBB23_30
.LBB23_33:                              ;   in Loop: Header=BB23_9 Depth=1
	global_store_dword v[0:1], v17, off
	s_or_b64 exec, exec, s[0:1]
	v_cmp_gt_u32_e32 vcc, s2, v4
	s_and_saveexec_b64 s[0:1], vcc
	s_cbranch_execz .LBB23_8
.LBB23_34:                              ;   in Loop: Header=BB23_9 Depth=1
	s_waitcnt lgkmcnt(0)
	global_store_dword v[0:1], v13, off offset:4
	s_branch .LBB23_8
.LBB23_35:
	s_endpgm
	.section	.rodata,"a",@progbits
	.p2align	6, 0x0
	.amdhsa_kernel _Z30block_run_length_decode_kernelIiiLj256ELj4ELj4EEvPKT_PKT0_PS0_
		.amdhsa_group_segment_fixed_size 8192
		.amdhsa_private_segment_fixed_size 0
		.amdhsa_kernarg_size 24
		.amdhsa_user_sgpr_count 6
		.amdhsa_user_sgpr_private_segment_buffer 1
		.amdhsa_user_sgpr_dispatch_ptr 0
		.amdhsa_user_sgpr_queue_ptr 0
		.amdhsa_user_sgpr_kernarg_segment_ptr 1
		.amdhsa_user_sgpr_dispatch_id 0
		.amdhsa_user_sgpr_flat_scratch_init 0
		.amdhsa_user_sgpr_private_segment_size 0
		.amdhsa_uses_dynamic_stack 0
		.amdhsa_system_sgpr_private_segment_wavefront_offset 0
		.amdhsa_system_sgpr_workgroup_id_x 1
		.amdhsa_system_sgpr_workgroup_id_y 0
		.amdhsa_system_sgpr_workgroup_id_z 0
		.amdhsa_system_sgpr_workgroup_info 0
		.amdhsa_system_vgpr_workitem_id 0
		.amdhsa_next_free_vgpr 29
		.amdhsa_next_free_sgpr 61
		.amdhsa_reserve_vcc 1
		.amdhsa_reserve_flat_scratch 0
		.amdhsa_float_round_mode_32 0
		.amdhsa_float_round_mode_16_64 0
		.amdhsa_float_denorm_mode_32 3
		.amdhsa_float_denorm_mode_16_64 3
		.amdhsa_dx10_clamp 1
		.amdhsa_ieee_mode 1
		.amdhsa_fp16_overflow 0
		.amdhsa_exception_fp_ieee_invalid_op 0
		.amdhsa_exception_fp_denorm_src 0
		.amdhsa_exception_fp_ieee_div_zero 0
		.amdhsa_exception_fp_ieee_overflow 0
		.amdhsa_exception_fp_ieee_underflow 0
		.amdhsa_exception_fp_ieee_inexact 0
		.amdhsa_exception_int_div_zero 0
	.end_amdhsa_kernel
	.section	.text._Z30block_run_length_decode_kernelIiiLj256ELj4ELj4EEvPKT_PKT0_PS0_,"axG",@progbits,_Z30block_run_length_decode_kernelIiiLj256ELj4ELj4EEvPKT_PKT0_PS0_,comdat
.Lfunc_end23:
	.size	_Z30block_run_length_decode_kernelIiiLj256ELj4ELj4EEvPKT_PKT0_PS0_, .Lfunc_end23-_Z30block_run_length_decode_kernelIiiLj256ELj4ELj4EEvPKT_PKT0_PS0_
                                        ; -- End function
	.set _Z30block_run_length_decode_kernelIiiLj256ELj4ELj4EEvPKT_PKT0_PS0_.num_vgpr, 20
	.set _Z30block_run_length_decode_kernelIiiLj256ELj4ELj4EEvPKT_PKT0_PS0_.num_agpr, 0
	.set _Z30block_run_length_decode_kernelIiiLj256ELj4ELj4EEvPKT_PKT0_PS0_.numbered_sgpr, 8
	.set _Z30block_run_length_decode_kernelIiiLj256ELj4ELj4EEvPKT_PKT0_PS0_.num_named_barrier, 0
	.set _Z30block_run_length_decode_kernelIiiLj256ELj4ELj4EEvPKT_PKT0_PS0_.private_seg_size, 0
	.set _Z30block_run_length_decode_kernelIiiLj256ELj4ELj4EEvPKT_PKT0_PS0_.uses_vcc, 1
	.set _Z30block_run_length_decode_kernelIiiLj256ELj4ELj4EEvPKT_PKT0_PS0_.uses_flat_scratch, 0
	.set _Z30block_run_length_decode_kernelIiiLj256ELj4ELj4EEvPKT_PKT0_PS0_.has_dyn_sized_stack, 0
	.set _Z30block_run_length_decode_kernelIiiLj256ELj4ELj4EEvPKT_PKT0_PS0_.has_recursion, 0
	.set _Z30block_run_length_decode_kernelIiiLj256ELj4ELj4EEvPKT_PKT0_PS0_.has_indirect_call, 0
	.section	.AMDGPU.csdata,"",@progbits
; Kernel info:
; codeLenInByte = 1792
; TotalNumSgprs: 12
; NumVgprs: 20
; ScratchSize: 0
; MemoryBound: 0
; FloatMode: 240
; IeeeMode: 1
; LDSByteSize: 8192 bytes/workgroup (compile time only)
; SGPRBlocks: 8
; VGPRBlocks: 7
; NumSGPRsForWavesPerEU: 65
; NumVGPRsForWavesPerEU: 29
; Occupancy: 8
; WaveLimiterHint : 0
; COMPUTE_PGM_RSRC2:SCRATCH_EN: 0
; COMPUTE_PGM_RSRC2:USER_SGPR: 6
; COMPUTE_PGM_RSRC2:TRAP_HANDLER: 0
; COMPUTE_PGM_RSRC2:TGID_X_EN: 1
; COMPUTE_PGM_RSRC2:TGID_Y_EN: 0
; COMPUTE_PGM_RSRC2:TGID_Z_EN: 0
; COMPUTE_PGM_RSRC2:TIDIG_COMP_CNT: 0
	.section	.AMDGPU.gpr_maximums,"",@progbits
	.set amdgpu.max_num_vgpr, 0
	.set amdgpu.max_num_agpr, 0
	.set amdgpu.max_num_sgpr, 0
	.section	.AMDGPU.csdata,"",@progbits
	.type	__hip_cuid_b2fa203c521ec189,@object ; @__hip_cuid_b2fa203c521ec189
	.section	.bss,"aw",@nobits
	.globl	__hip_cuid_b2fa203c521ec189
__hip_cuid_b2fa203c521ec189:
	.byte	0                               ; 0x0
	.size	__hip_cuid_b2fa203c521ec189, 1

	.ident	"AMD clang version 22.0.0git (https://github.com/RadeonOpenCompute/llvm-project roc-7.2.4 26084 f58b06dce1f9c15707c5f808fd002e18c2accf7e)"
	.section	".note.GNU-stack","",@progbits
	.addrsig
	.addrsig_sym __hip_cuid_b2fa203c521ec189
	.amdgpu_metadata
---
amdhsa.kernels:
  - .args:
      - .address_space:  global
        .offset:         0
        .size:           8
        .value_kind:     global_buffer
      - .address_space:  global
        .offset:         8
        .size:           8
        .value_kind:     global_buffer
      - .address_space:  global
        .offset:         16
        .size:           8
        .value_kind:     global_buffer
    .group_segment_fixed_size: 13824
    .kernarg_segment_align: 8
    .kernarg_segment_size: 24
    .language:       OpenCL C
    .language_version:
      - 2
      - 0
    .max_flat_workgroup_size: 256
    .name:           _Z30block_run_length_decode_kernelI12hip_bfloat16iLj256ELj9ELj7EEvPKT_PKT0_PS1_
    .private_segment_fixed_size: 0
    .sgpr_count:     13
    .sgpr_spill_count: 0
    .symbol:         _Z30block_run_length_decode_kernelI12hip_bfloat16iLj256ELj9ELj7EEvPKT_PKT0_PS1_.kd
    .uniform_work_group_size: 1
    .uses_dynamic_stack: false
    .vgpr_count:     26
    .vgpr_spill_count: 0
    .wavefront_size: 64
  - .args:
      - .address_space:  global
        .offset:         0
        .size:           8
        .value_kind:     global_buffer
      - .address_space:  global
        .offset:         8
        .size:           8
        .value_kind:     global_buffer
      - .address_space:  global
        .offset:         16
        .size:           8
        .value_kind:     global_buffer
    .group_segment_fixed_size: 13824
    .kernarg_segment_align: 8
    .kernarg_segment_size: 24
    .language:       OpenCL C
    .language_version:
      - 2
      - 0
    .max_flat_workgroup_size: 256
    .name:           _Z30block_run_length_decode_kernelI6__halfiLj256ELj9ELj7EEvPKT_PKT0_PS1_
    .private_segment_fixed_size: 0
    .sgpr_count:     13
    .sgpr_spill_count: 0
    .symbol:         _Z30block_run_length_decode_kernelI6__halfiLj256ELj9ELj7EEvPKT_PKT0_PS1_.kd
    .uniform_work_group_size: 1
    .uses_dynamic_stack: false
    .vgpr_count:     26
    .vgpr_spill_count: 0
    .wavefront_size: 64
  - .args:
      - .address_space:  global
        .offset:         0
        .size:           8
        .value_kind:     global_buffer
      - .address_space:  global
        .offset:         8
        .size:           8
        .value_kind:     global_buffer
      - .address_space:  global
        .offset:         16
        .size:           8
        .value_kind:     global_buffer
    .group_segment_fixed_size: 18432
    .kernarg_segment_align: 8
    .kernarg_segment_size: 24
    .language:       OpenCL C
    .language_version:
      - 2
      - 0
    .max_flat_workgroup_size: 256
    .name:           _Z30block_run_length_decode_kernelIfiLj256ELj9ELj7EEvPKT_PKT0_PS0_
    .private_segment_fixed_size: 0
    .sgpr_count:     13
    .sgpr_spill_count: 0
    .symbol:         _Z30block_run_length_decode_kernelIfiLj256ELj9ELj7EEvPKT_PKT0_PS0_.kd
    .uniform_work_group_size: 1
    .uses_dynamic_stack: false
    .vgpr_count:     26
    .vgpr_spill_count: 0
    .wavefront_size: 64
  - .args:
      - .address_space:  global
        .offset:         0
        .size:           8
        .value_kind:     global_buffer
      - .address_space:  global
        .offset:         8
        .size:           8
        .value_kind:     global_buffer
      - .address_space:  global
        .offset:         16
        .size:           8
        .value_kind:     global_buffer
    .group_segment_fixed_size: 11520
    .kernarg_segment_align: 8
    .kernarg_segment_size: 24
    .language:       OpenCL C
    .language_version:
      - 2
      - 0
    .max_flat_workgroup_size: 256
    .name:           _Z30block_run_length_decode_kernelIcxLj256ELj9ELj7EEvPKT_PKT0_PS0_
    .private_segment_fixed_size: 0
    .sgpr_count:     12
    .sgpr_spill_count: 0
    .symbol:         _Z30block_run_length_decode_kernelIcxLj256ELj9ELj7EEvPKT_PKT0_PS0_.kd
    .uniform_work_group_size: 1
    .uses_dynamic_stack: false
    .vgpr_count:     26
    .vgpr_spill_count: 0
    .wavefront_size: 64
  - .args:
      - .address_space:  global
        .offset:         0
        .size:           8
        .value_kind:     global_buffer
      - .address_space:  global
        .offset:         8
        .size:           8
        .value_kind:     global_buffer
      - .address_space:  global
        .offset:         16
        .size:           8
        .value_kind:     global_buffer
    .group_segment_fixed_size: 27648
    .kernarg_segment_align: 8
    .kernarg_segment_size: 24
    .language:       OpenCL C
    .language_version:
      - 2
      - 0
    .max_flat_workgroup_size: 256
    .name:           _Z30block_run_length_decode_kernelIdcLj256ELj9ELj7EEvPKT_PKT0_PS0_
    .private_segment_fixed_size: 0
    .sgpr_count:     13
    .sgpr_spill_count: 0
    .symbol:         _Z30block_run_length_decode_kernelIdcLj256ELj9ELj7EEvPKT_PKT0_PS0_.kd
    .uniform_work_group_size: 1
    .uses_dynamic_stack: false
    .vgpr_count:     35
    .vgpr_spill_count: 0
    .wavefront_size: 64
  - .args:
      - .address_space:  global
        .offset:         0
        .size:           8
        .value_kind:     global_buffer
      - .address_space:  global
        .offset:         8
        .size:           8
        .value_kind:     global_buffer
      - .address_space:  global
        .offset:         16
        .size:           8
        .value_kind:     global_buffer
    .group_segment_fixed_size: 18432
    .kernarg_segment_align: 8
    .kernarg_segment_size: 24
    .language:       OpenCL C
    .language_version:
      - 2
      - 0
    .max_flat_workgroup_size: 256
    .name:           _Z30block_run_length_decode_kernelIiiLj256ELj9ELj7EEvPKT_PKT0_PS0_
    .private_segment_fixed_size: 0
    .sgpr_count:     13
    .sgpr_spill_count: 0
    .symbol:         _Z30block_run_length_decode_kernelIiiLj256ELj9ELj7EEvPKT_PKT0_PS0_.kd
    .uniform_work_group_size: 1
    .uses_dynamic_stack: false
    .vgpr_count:     26
    .vgpr_spill_count: 0
    .wavefront_size: 64
  - .args:
      - .address_space:  global
        .offset:         0
        .size:           8
        .value_kind:     global_buffer
      - .address_space:  global
        .offset:         8
        .size:           8
        .value_kind:     global_buffer
      - .address_space:  global
        .offset:         16
        .size:           8
        .value_kind:     global_buffer
    .group_segment_fixed_size: 1536
    .kernarg_segment_align: 8
    .kernarg_segment_size: 24
    .language:       OpenCL C
    .language_version:
      - 2
      - 0
    .max_flat_workgroup_size: 256
    .name:           _Z30block_run_length_decode_kernelI12hip_bfloat16iLj256ELj1ELj14EEvPKT_PKT0_PS1_
    .private_segment_fixed_size: 0
    .sgpr_count:     13
    .sgpr_spill_count: 0
    .symbol:         _Z30block_run_length_decode_kernelI12hip_bfloat16iLj256ELj1ELj14EEvPKT_PKT0_PS1_.kd
    .uniform_work_group_size: 1
    .uses_dynamic_stack: false
    .vgpr_count:     36
    .vgpr_spill_count: 0
    .wavefront_size: 64
  - .args:
      - .address_space:  global
        .offset:         0
        .size:           8
        .value_kind:     global_buffer
      - .address_space:  global
        .offset:         8
        .size:           8
        .value_kind:     global_buffer
      - .address_space:  global
        .offset:         16
        .size:           8
        .value_kind:     global_buffer
    .group_segment_fixed_size: 1536
    .kernarg_segment_align: 8
    .kernarg_segment_size: 24
    .language:       OpenCL C
    .language_version:
      - 2
      - 0
    .max_flat_workgroup_size: 256
    .name:           _Z30block_run_length_decode_kernelI6__halfiLj256ELj1ELj14EEvPKT_PKT0_PS1_
    .private_segment_fixed_size: 0
    .sgpr_count:     13
    .sgpr_spill_count: 0
    .symbol:         _Z30block_run_length_decode_kernelI6__halfiLj256ELj1ELj14EEvPKT_PKT0_PS1_.kd
    .uniform_work_group_size: 1
    .uses_dynamic_stack: false
    .vgpr_count:     36
    .vgpr_spill_count: 0
    .wavefront_size: 64
  - .args:
      - .address_space:  global
        .offset:         0
        .size:           8
        .value_kind:     global_buffer
      - .address_space:  global
        .offset:         8
        .size:           8
        .value_kind:     global_buffer
      - .address_space:  global
        .offset:         16
        .size:           8
        .value_kind:     global_buffer
    .group_segment_fixed_size: 2048
    .kernarg_segment_align: 8
    .kernarg_segment_size: 24
    .language:       OpenCL C
    .language_version:
      - 2
      - 0
    .max_flat_workgroup_size: 256
    .name:           _Z30block_run_length_decode_kernelIfiLj256ELj1ELj14EEvPKT_PKT0_PS0_
    .private_segment_fixed_size: 0
    .sgpr_count:     13
    .sgpr_spill_count: 0
    .symbol:         _Z30block_run_length_decode_kernelIfiLj256ELj1ELj14EEvPKT_PKT0_PS0_.kd
    .uniform_work_group_size: 1
    .uses_dynamic_stack: false
    .vgpr_count:     36
    .vgpr_spill_count: 0
    .wavefront_size: 64
  - .args:
      - .address_space:  global
        .offset:         0
        .size:           8
        .value_kind:     global_buffer
      - .address_space:  global
        .offset:         8
        .size:           8
        .value_kind:     global_buffer
      - .address_space:  global
        .offset:         16
        .size:           8
        .value_kind:     global_buffer
    .group_segment_fixed_size: 1280
    .kernarg_segment_align: 8
    .kernarg_segment_size: 24
    .language:       OpenCL C
    .language_version:
      - 2
      - 0
    .max_flat_workgroup_size: 256
    .name:           _Z30block_run_length_decode_kernelIcxLj256ELj1ELj14EEvPKT_PKT0_PS0_
    .private_segment_fixed_size: 0
    .sgpr_count:     12
    .sgpr_spill_count: 0
    .symbol:         _Z30block_run_length_decode_kernelIcxLj256ELj1ELj14EEvPKT_PKT0_PS0_.kd
    .uniform_work_group_size: 1
    .uses_dynamic_stack: false
    .vgpr_count:     36
    .vgpr_spill_count: 0
    .wavefront_size: 64
  - .args:
      - .address_space:  global
        .offset:         0
        .size:           8
        .value_kind:     global_buffer
      - .address_space:  global
        .offset:         8
        .size:           8
        .value_kind:     global_buffer
      - .address_space:  global
        .offset:         16
        .size:           8
        .value_kind:     global_buffer
    .group_segment_fixed_size: 3072
    .kernarg_segment_align: 8
    .kernarg_segment_size: 24
    .language:       OpenCL C
    .language_version:
      - 2
      - 0
    .max_flat_workgroup_size: 256
    .name:           _Z30block_run_length_decode_kernelIdcLj256ELj1ELj14EEvPKT_PKT0_PS0_
    .private_segment_fixed_size: 0
    .sgpr_count:     13
    .sgpr_spill_count: 0
    .symbol:         _Z30block_run_length_decode_kernelIdcLj256ELj1ELj14EEvPKT_PKT0_PS0_.kd
    .uniform_work_group_size: 1
    .uses_dynamic_stack: false
    .vgpr_count:     47
    .vgpr_spill_count: 0
    .wavefront_size: 64
  - .args:
      - .address_space:  global
        .offset:         0
        .size:           8
        .value_kind:     global_buffer
      - .address_space:  global
        .offset:         8
        .size:           8
        .value_kind:     global_buffer
      - .address_space:  global
        .offset:         16
        .size:           8
        .value_kind:     global_buffer
    .group_segment_fixed_size: 2048
    .kernarg_segment_align: 8
    .kernarg_segment_size: 24
    .language:       OpenCL C
    .language_version:
      - 2
      - 0
    .max_flat_workgroup_size: 256
    .name:           _Z30block_run_length_decode_kernelIiiLj256ELj1ELj14EEvPKT_PKT0_PS0_
    .private_segment_fixed_size: 0
    .sgpr_count:     13
    .sgpr_spill_count: 0
    .symbol:         _Z30block_run_length_decode_kernelIiiLj256ELj1ELj14EEvPKT_PKT0_PS0_.kd
    .uniform_work_group_size: 1
    .uses_dynamic_stack: false
    .vgpr_count:     36
    .vgpr_spill_count: 0
    .wavefront_size: 64
  - .args:
      - .address_space:  global
        .offset:         0
        .size:           8
        .value_kind:     global_buffer
      - .address_space:  global
        .offset:         8
        .size:           8
        .value_kind:     global_buffer
      - .address_space:  global
        .offset:         16
        .size:           8
        .value_kind:     global_buffer
    .group_segment_fixed_size: 12288
    .kernarg_segment_align: 8
    .kernarg_segment_size: 24
    .language:       OpenCL C
    .language_version:
      - 2
      - 0
    .max_flat_workgroup_size: 256
    .name:           _Z30block_run_length_decode_kernelI12hip_bfloat16iLj256ELj8ELj8EEvPKT_PKT0_PS1_
    .private_segment_fixed_size: 0
    .sgpr_count:     12
    .sgpr_spill_count: 0
    .symbol:         _Z30block_run_length_decode_kernelI12hip_bfloat16iLj256ELj8ELj8EEvPKT_PKT0_PS1_.kd
    .uniform_work_group_size: 1
    .uses_dynamic_stack: false
    .vgpr_count:     28
    .vgpr_spill_count: 0
    .wavefront_size: 64
  - .args:
      - .address_space:  global
        .offset:         0
        .size:           8
        .value_kind:     global_buffer
      - .address_space:  global
        .offset:         8
        .size:           8
        .value_kind:     global_buffer
      - .address_space:  global
        .offset:         16
        .size:           8
        .value_kind:     global_buffer
    .group_segment_fixed_size: 12288
    .kernarg_segment_align: 8
    .kernarg_segment_size: 24
    .language:       OpenCL C
    .language_version:
      - 2
      - 0
    .max_flat_workgroup_size: 256
    .name:           _Z30block_run_length_decode_kernelI6__halfiLj256ELj8ELj8EEvPKT_PKT0_PS1_
    .private_segment_fixed_size: 0
    .sgpr_count:     12
    .sgpr_spill_count: 0
    .symbol:         _Z30block_run_length_decode_kernelI6__halfiLj256ELj8ELj8EEvPKT_PKT0_PS1_.kd
    .uniform_work_group_size: 1
    .uses_dynamic_stack: false
    .vgpr_count:     28
    .vgpr_spill_count: 0
    .wavefront_size: 64
  - .args:
      - .address_space:  global
        .offset:         0
        .size:           8
        .value_kind:     global_buffer
      - .address_space:  global
        .offset:         8
        .size:           8
        .value_kind:     global_buffer
      - .address_space:  global
        .offset:         16
        .size:           8
        .value_kind:     global_buffer
    .group_segment_fixed_size: 16384
    .kernarg_segment_align: 8
    .kernarg_segment_size: 24
    .language:       OpenCL C
    .language_version:
      - 2
      - 0
    .max_flat_workgroup_size: 256
    .name:           _Z30block_run_length_decode_kernelIfiLj256ELj8ELj8EEvPKT_PKT0_PS0_
    .private_segment_fixed_size: 0
    .sgpr_count:     12
    .sgpr_spill_count: 0
    .symbol:         _Z30block_run_length_decode_kernelIfiLj256ELj8ELj8EEvPKT_PKT0_PS0_.kd
    .uniform_work_group_size: 1
    .uses_dynamic_stack: false
    .vgpr_count:     28
    .vgpr_spill_count: 0
    .wavefront_size: 64
  - .args:
      - .address_space:  global
        .offset:         0
        .size:           8
        .value_kind:     global_buffer
      - .address_space:  global
        .offset:         8
        .size:           8
        .value_kind:     global_buffer
      - .address_space:  global
        .offset:         16
        .size:           8
        .value_kind:     global_buffer
    .group_segment_fixed_size: 10240
    .kernarg_segment_align: 8
    .kernarg_segment_size: 24
    .language:       OpenCL C
    .language_version:
      - 2
      - 0
    .max_flat_workgroup_size: 256
    .name:           _Z30block_run_length_decode_kernelIcxLj256ELj8ELj8EEvPKT_PKT0_PS0_
    .private_segment_fixed_size: 0
    .sgpr_count:     13
    .sgpr_spill_count: 0
    .symbol:         _Z30block_run_length_decode_kernelIcxLj256ELj8ELj8EEvPKT_PKT0_PS0_.kd
    .uniform_work_group_size: 1
    .uses_dynamic_stack: false
    .vgpr_count:     28
    .vgpr_spill_count: 0
    .wavefront_size: 64
  - .args:
      - .address_space:  global
        .offset:         0
        .size:           8
        .value_kind:     global_buffer
      - .address_space:  global
        .offset:         8
        .size:           8
        .value_kind:     global_buffer
      - .address_space:  global
        .offset:         16
        .size:           8
        .value_kind:     global_buffer
    .group_segment_fixed_size: 24576
    .kernarg_segment_align: 8
    .kernarg_segment_size: 24
    .language:       OpenCL C
    .language_version:
      - 2
      - 0
    .max_flat_workgroup_size: 256
    .name:           _Z30block_run_length_decode_kernelIdcLj256ELj8ELj8EEvPKT_PKT0_PS0_
    .private_segment_fixed_size: 0
    .sgpr_count:     12
    .sgpr_spill_count: 0
    .symbol:         _Z30block_run_length_decode_kernelIdcLj256ELj8ELj8EEvPKT_PKT0_PS0_.kd
    .uniform_work_group_size: 1
    .uses_dynamic_stack: false
    .vgpr_count:     35
    .vgpr_spill_count: 0
    .wavefront_size: 64
  - .args:
      - .address_space:  global
        .offset:         0
        .size:           8
        .value_kind:     global_buffer
      - .address_space:  global
        .offset:         8
        .size:           8
        .value_kind:     global_buffer
      - .address_space:  global
        .offset:         16
        .size:           8
        .value_kind:     global_buffer
    .group_segment_fixed_size: 16384
    .kernarg_segment_align: 8
    .kernarg_segment_size: 24
    .language:       OpenCL C
    .language_version:
      - 2
      - 0
    .max_flat_workgroup_size: 256
    .name:           _Z30block_run_length_decode_kernelIiiLj256ELj8ELj8EEvPKT_PKT0_PS0_
    .private_segment_fixed_size: 0
    .sgpr_count:     12
    .sgpr_spill_count: 0
    .symbol:         _Z30block_run_length_decode_kernelIiiLj256ELj8ELj8EEvPKT_PKT0_PS0_.kd
    .uniform_work_group_size: 1
    .uses_dynamic_stack: false
    .vgpr_count:     28
    .vgpr_spill_count: 0
    .wavefront_size: 64
  - .args:
      - .address_space:  global
        .offset:         0
        .size:           8
        .value_kind:     global_buffer
      - .address_space:  global
        .offset:         8
        .size:           8
        .value_kind:     global_buffer
      - .address_space:  global
        .offset:         16
        .size:           8
        .value_kind:     global_buffer
    .group_segment_fixed_size: 6144
    .kernarg_segment_align: 8
    .kernarg_segment_size: 24
    .language:       OpenCL C
    .language_version:
      - 2
      - 0
    .max_flat_workgroup_size: 256
    .name:           _Z30block_run_length_decode_kernelI12hip_bfloat16iLj256ELj4ELj4EEvPKT_PKT0_PS1_
    .private_segment_fixed_size: 0
    .sgpr_count:     12
    .sgpr_spill_count: 0
    .symbol:         _Z30block_run_length_decode_kernelI12hip_bfloat16iLj256ELj4ELj4EEvPKT_PKT0_PS1_.kd
    .uniform_work_group_size: 1
    .uses_dynamic_stack: false
    .vgpr_count:     20
    .vgpr_spill_count: 0
    .wavefront_size: 64
  - .args:
      - .address_space:  global
        .offset:         0
        .size:           8
        .value_kind:     global_buffer
      - .address_space:  global
        .offset:         8
        .size:           8
        .value_kind:     global_buffer
      - .address_space:  global
        .offset:         16
        .size:           8
        .value_kind:     global_buffer
    .group_segment_fixed_size: 6144
    .kernarg_segment_align: 8
    .kernarg_segment_size: 24
    .language:       OpenCL C
    .language_version:
      - 2
      - 0
    .max_flat_workgroup_size: 256
    .name:           _Z30block_run_length_decode_kernelI6__halfiLj256ELj4ELj4EEvPKT_PKT0_PS1_
    .private_segment_fixed_size: 0
    .sgpr_count:     12
    .sgpr_spill_count: 0
    .symbol:         _Z30block_run_length_decode_kernelI6__halfiLj256ELj4ELj4EEvPKT_PKT0_PS1_.kd
    .uniform_work_group_size: 1
    .uses_dynamic_stack: false
    .vgpr_count:     20
    .vgpr_spill_count: 0
    .wavefront_size: 64
  - .args:
      - .address_space:  global
        .offset:         0
        .size:           8
        .value_kind:     global_buffer
      - .address_space:  global
        .offset:         8
        .size:           8
        .value_kind:     global_buffer
      - .address_space:  global
        .offset:         16
        .size:           8
        .value_kind:     global_buffer
    .group_segment_fixed_size: 8192
    .kernarg_segment_align: 8
    .kernarg_segment_size: 24
    .language:       OpenCL C
    .language_version:
      - 2
      - 0
    .max_flat_workgroup_size: 256
    .name:           _Z30block_run_length_decode_kernelIfiLj256ELj4ELj4EEvPKT_PKT0_PS0_
    .private_segment_fixed_size: 0
    .sgpr_count:     12
    .sgpr_spill_count: 0
    .symbol:         _Z30block_run_length_decode_kernelIfiLj256ELj4ELj4EEvPKT_PKT0_PS0_.kd
    .uniform_work_group_size: 1
    .uses_dynamic_stack: false
    .vgpr_count:     20
    .vgpr_spill_count: 0
    .wavefront_size: 64
  - .args:
      - .address_space:  global
        .offset:         0
        .size:           8
        .value_kind:     global_buffer
      - .address_space:  global
        .offset:         8
        .size:           8
        .value_kind:     global_buffer
      - .address_space:  global
        .offset:         16
        .size:           8
        .value_kind:     global_buffer
    .group_segment_fixed_size: 5120
    .kernarg_segment_align: 8
    .kernarg_segment_size: 24
    .language:       OpenCL C
    .language_version:
      - 2
      - 0
    .max_flat_workgroup_size: 256
    .name:           _Z30block_run_length_decode_kernelIcxLj256ELj4ELj4EEvPKT_PKT0_PS0_
    .private_segment_fixed_size: 0
    .sgpr_count:     13
    .sgpr_spill_count: 0
    .symbol:         _Z30block_run_length_decode_kernelIcxLj256ELj4ELj4EEvPKT_PKT0_PS0_.kd
    .uniform_work_group_size: 1
    .uses_dynamic_stack: false
    .vgpr_count:     20
    .vgpr_spill_count: 0
    .wavefront_size: 64
  - .args:
      - .address_space:  global
        .offset:         0
        .size:           8
        .value_kind:     global_buffer
      - .address_space:  global
        .offset:         8
        .size:           8
        .value_kind:     global_buffer
      - .address_space:  global
        .offset:         16
        .size:           8
        .value_kind:     global_buffer
    .group_segment_fixed_size: 12288
    .kernarg_segment_align: 8
    .kernarg_segment_size: 24
    .language:       OpenCL C
    .language_version:
      - 2
      - 0
    .max_flat_workgroup_size: 256
    .name:           _Z30block_run_length_decode_kernelIdcLj256ELj4ELj4EEvPKT_PKT0_PS0_
    .private_segment_fixed_size: 0
    .sgpr_count:     12
    .sgpr_spill_count: 0
    .symbol:         _Z30block_run_length_decode_kernelIdcLj256ELj4ELj4EEvPKT_PKT0_PS0_.kd
    .uniform_work_group_size: 1
    .uses_dynamic_stack: false
    .vgpr_count:     23
    .vgpr_spill_count: 0
    .wavefront_size: 64
  - .args:
      - .address_space:  global
        .offset:         0
        .size:           8
        .value_kind:     global_buffer
      - .address_space:  global
        .offset:         8
        .size:           8
        .value_kind:     global_buffer
      - .address_space:  global
        .offset:         16
        .size:           8
        .value_kind:     global_buffer
    .group_segment_fixed_size: 8192
    .kernarg_segment_align: 8
    .kernarg_segment_size: 24
    .language:       OpenCL C
    .language_version:
      - 2
      - 0
    .max_flat_workgroup_size: 256
    .name:           _Z30block_run_length_decode_kernelIiiLj256ELj4ELj4EEvPKT_PKT0_PS0_
    .private_segment_fixed_size: 0
    .sgpr_count:     12
    .sgpr_spill_count: 0
    .symbol:         _Z30block_run_length_decode_kernelIiiLj256ELj4ELj4EEvPKT_PKT0_PS0_.kd
    .uniform_work_group_size: 1
    .uses_dynamic_stack: false
    .vgpr_count:     20
    .vgpr_spill_count: 0
    .wavefront_size: 64
amdhsa.target:   amdgcn-amd-amdhsa--gfx906
amdhsa.version:
  - 1
  - 2
...

	.end_amdgpu_metadata
